;; amdgpu-corpus repo=ROCm/rocFFT kind=compiled arch=gfx906 opt=O3
	.text
	.amdgcn_target "amdgcn-amd-amdhsa--gfx906"
	.amdhsa_code_object_version 6
	.protected	bluestein_single_fwd_len850_dim1_dp_op_CI_CI ; -- Begin function bluestein_single_fwd_len850_dim1_dp_op_CI_CI
	.globl	bluestein_single_fwd_len850_dim1_dp_op_CI_CI
	.p2align	8
	.type	bluestein_single_fwd_len850_dim1_dp_op_CI_CI,@function
bluestein_single_fwd_len850_dim1_dp_op_CI_CI: ; @bluestein_single_fwd_len850_dim1_dp_op_CI_CI
; %bb.0:
	s_load_dwordx4 s[16:19], s[4:5], 0x28
	s_mov_b64 s[66:67], s[2:3]
	v_mul_u32_u24_e32 v1, 0x304, v0
	s_mov_b64 s[64:65], s[0:1]
	v_add_u32_sdwa v4, s6, v1 dst_sel:DWORD dst_unused:UNUSED_PAD src0_sel:DWORD src1_sel:WORD_1
	v_mov_b32_e32 v5, 0
	s_add_u32 s64, s64, s7
	s_waitcnt lgkmcnt(0)
	v_cmp_gt_u64_e32 vcc, s[16:17], v[4:5]
	s_addc_u32 s65, s65, 0
	s_and_saveexec_b64 s[0:1], vcc
	s_cbranch_execz .LBB0_10
; %bb.1:
	s_load_dwordx4 s[0:3], s[4:5], 0x18
	s_load_dwordx4 s[12:15], s[4:5], 0x0
	v_mov_b32_e32 v5, v4
	s_mov_b32 s17, 0xbfe2cf23
	s_mov_b32 s20, 0x9b97f4a8
	s_waitcnt lgkmcnt(0)
	s_load_dwordx4 s[8:11], s[0:1], 0x0
	s_movk_i32 s0, 0x55
	v_mul_lo_u16_sdwa v1, v1, s0 dst_sel:DWORD dst_unused:UNUSED_PAD src0_sel:WORD_1 src1_sel:DWORD
	v_sub_u16_e32 v73, v0, v1
	buffer_store_dword v5, off, s[64:67], 0 offset:112 ; 4-byte Folded Spill
	s_nop 0
	buffer_store_dword v6, off, s[64:67], 0 offset:116 ; 4-byte Folded Spill
	s_waitcnt lgkmcnt(0)
	v_mad_u64_u32 v[0:1], s[0:1], s10, v4, 0
	v_mad_u64_u32 v[2:3], s[0:1], s8, v73, 0
	v_lshlrev_b32_e32 v224, 4, v73
	s_mul_hi_u32 s6, s8, 0x550
	v_mad_u64_u32 v[4:5], s[0:1], s11, v4, v[1:2]
	s_mul_i32 s7, s8, 0x550
	s_mov_b32 s21, 0x3fe9e377
	v_mad_u64_u32 v[5:6], s[0:1], s9, v73, v[3:4]
	v_mov_b32_e32 v1, v4
	v_lshlrev_b64 v[0:1], 4, v[0:1]
	v_mov_b32_e32 v6, s19
	v_mov_b32_e32 v3, v5
	v_add_co_u32_e32 v4, vcc, s18, v0
	v_addc_co_u32_e32 v5, vcc, v6, v1, vcc
	v_lshlrev_b64 v[0:1], 4, v[2:3]
	s_mov_b32 s19, 0xbfee6f0e
	v_add_co_u32_e32 v8, vcc, v4, v0
	v_addc_co_u32_e32 v9, vcc, v5, v1, vcc
	v_mov_b32_e32 v0, s13
	v_add_co_u32_e32 v10, vcc, s12, v224
	v_addc_co_u32_e64 v35, s[0:1], 0, v0, vcc
	s_mul_i32 s0, s9, 0x550
	s_add_i32 s6, s6, s0
	v_mov_b32_e32 v0, s6
	v_add_co_u32_e64 v11, s[0:1], s7, v8
	v_addc_co_u32_e64 v12, s[0:1], v9, v0, s[0:1]
	global_load_dwordx4 v[0:3], v[8:9], off
	global_load_dwordx4 v[4:7], v[11:12], off
	global_load_dwordx4 v[86:89], v224, s[12:13]
	global_load_dwordx4 v[74:77], v224, s[12:13] offset:1360
	v_mov_b32_e32 v9, s6
	v_add_co_u32_e64 v8, s[0:1], s7, v11
	v_addc_co_u32_e64 v9, s[0:1], v12, v9, s[0:1]
	v_mov_b32_e32 v11, s6
	v_add_co_u32_e64 v19, s[0:1], s7, v8
	v_addc_co_u32_e64 v20, s[0:1], v9, v11, s[0:1]
	global_load_dwordx4 v[11:14], v[8:9], off
	global_load_dwordx4 v[15:18], v[19:20], off
	global_load_dwordx4 v[78:81], v224, s[12:13] offset:2720
	global_load_dwordx4 v[59:62], v224, s[12:13] offset:4080
	v_mov_b32_e32 v9, s6
	v_add_co_u32_e64 v8, s[0:1], s7, v19
	v_addc_co_u32_e64 v9, s[0:1], v20, v9, s[0:1]
	s_movk_i32 s0, 0x1000
	v_add_co_u32_e64 v31, s[0:1], s0, v10
	v_addc_co_u32_e64 v32, s[0:1], 0, v35, s[0:1]
	global_load_dwordx4 v[19:22], v[8:9], off
	v_mov_b32_e32 v23, s6
	v_add_co_u32_e64 v8, s[0:1], s7, v8
	v_addc_co_u32_e64 v9, s[0:1], v9, v23, s[0:1]
	global_load_dwordx4 v[23:26], v[8:9], off
	global_load_dwordx4 v[82:85], v[31:32], off offset:1344
	global_load_dwordx4 v[63:66], v[31:32], off offset:2704
	v_mov_b32_e32 v27, s6
	v_add_co_u32_e64 v8, s[0:1], s7, v8
	v_addc_co_u32_e64 v9, s[0:1], v9, v27, s[0:1]
	global_load_dwordx4 v[27:30], v[8:9], off
	global_load_dwordx4 v[55:58], v[31:32], off offset:4064
	v_mov_b32_e32 v31, s6
	v_add_co_u32_e64 v8, s[0:1], s7, v8
	v_addc_co_u32_e64 v9, s[0:1], v9, v31, s[0:1]
	s_movk_i32 s0, 0x2000
	v_add_co_u32_e64 v43, s[0:1], s0, v10
	v_addc_co_u32_e64 v44, s[0:1], 0, v35, s[0:1]
	global_load_dwordx4 v[31:34], v[8:9], off
	v_mov_b32_e32 v35, s6
	v_add_co_u32_e64 v8, s[0:1], s7, v8
	v_addc_co_u32_e64 v9, s[0:1], v9, v35, s[0:1]
	global_load_dwordx4 v[35:38], v[8:9], off
	global_load_dwordx4 v[90:93], v[43:44], off offset:1328
	global_load_dwordx4 v[51:54], v[43:44], off offset:2688
	v_mov_b32_e32 v39, s6
	v_add_co_u32_e64 v8, s[0:1], s7, v8
	v_addc_co_u32_e64 v9, s[0:1], v9, v39, s[0:1]
	global_load_dwordx4 v[39:42], v[8:9], off
	global_load_dwordx4 v[67:70], v[43:44], off offset:4048
	s_mov_b32 s6, 0x134454ff
	s_mov_b32 s7, 0x3fee6f0e
	s_mov_b32 s18, s6
	s_mov_b32 s0, 0x372fe950
	s_mov_b32 s1, 0x3fd3c6ef
	s_movk_i32 s12, 0xcd
	s_load_dwordx2 s[4:5], s[4:5], 0x38
                                        ; implicit-def: $vgpr176_vgpr177
                                        ; implicit-def: $vgpr180_vgpr181
                                        ; implicit-def: $vgpr184_vgpr185
                                        ; implicit-def: $vgpr188_vgpr189
                                        ; implicit-def: $vgpr192_vgpr193
                                        ; implicit-def: $vgpr196_vgpr197
                                        ; implicit-def: $vgpr200_vgpr201
	s_waitcnt vmcnt(17)
	v_mul_f64 v[8:9], v[2:3], v[88:89]
	s_waitcnt vmcnt(16)
	v_mul_f64 v[45:46], v[6:7], v[76:77]
	v_mul_f64 v[43:44], v[0:1], v[88:89]
	;; [unrolled: 1-line block ×3, first 2 shown]
	v_fma_f64 v[0:1], v[0:1], v[86:87], v[8:9]
	buffer_store_dword v86, off, s[64:67], 0 offset:252 ; 4-byte Folded Spill
	s_nop 0
	buffer_store_dword v87, off, s[64:67], 0 offset:256 ; 4-byte Folded Spill
	buffer_store_dword v88, off, s[64:67], 0 offset:260 ; 4-byte Folded Spill
	;; [unrolled: 1-line block ×3, first 2 shown]
	v_fma_f64 v[4:5], v[4:5], v[74:75], v[45:46]
	buffer_store_dword v74, off, s[64:67], 0 offset:204 ; 4-byte Folded Spill
	s_nop 0
	buffer_store_dword v75, off, s[64:67], 0 offset:208 ; 4-byte Folded Spill
	buffer_store_dword v76, off, s[64:67], 0 offset:212 ; 4-byte Folded Spill
	;; [unrolled: 1-line block ×3, first 2 shown]
	s_load_dwordx4 s[8:11], s[2:3], 0x0
	s_mov_b32 s2, 0x4755a5e
	s_mov_b32 s3, 0x3fe2cf23
	;; [unrolled: 1-line block ×3, first 2 shown]
	s_waitcnt vmcnt(17)
	v_mul_f64 v[8:9], v[21:22], v[84:85]
	s_waitcnt vmcnt(16)
	v_mul_f64 v[45:46], v[25:26], v[65:66]
	;; [unrolled: 2-line block ×3, first 2 shown]
	v_fma_f64 v[2:3], v[2:3], v[86:87], -v[43:44]
	v_mul_f64 v[43:44], v[19:20], v[84:85]
	v_fma_f64 v[6:7], v[6:7], v[74:75], -v[47:48]
	ds_write_b128 v224, v[0:3]
	ds_write_b128 v224, v[4:7] offset:1360
	v_mul_f64 v[0:1], v[13:14], v[80:81]
	v_mul_f64 v[4:5], v[17:18], v[61:62]
	;; [unrolled: 1-line block ×5, first 2 shown]
	v_fma_f64 v[0:1], v[11:12], v[78:79], v[0:1]
	buffer_store_dword v78, off, s[64:67], 0 offset:220 ; 4-byte Folded Spill
	s_nop 0
	buffer_store_dword v79, off, s[64:67], 0 offset:224 ; 4-byte Folded Spill
	buffer_store_dword v80, off, s[64:67], 0 offset:228 ; 4-byte Folded Spill
	buffer_store_dword v81, off, s[64:67], 0 offset:232 ; 4-byte Folded Spill
	v_fma_f64 v[4:5], v[15:16], v[59:60], v[4:5]
	buffer_store_dword v59, off, s[64:67], 0 offset:156 ; 4-byte Folded Spill
	s_nop 0
	buffer_store_dword v60, off, s[64:67], 0 offset:160 ; 4-byte Folded Spill
	buffer_store_dword v61, off, s[64:67], 0 offset:164 ; 4-byte Folded Spill
	buffer_store_dword v62, off, s[64:67], 0 offset:168 ; 4-byte Folded Spill
	v_fma_f64 v[11:12], v[19:20], v[82:83], v[8:9]
	buffer_store_dword v82, off, s[64:67], 0 offset:236 ; 4-byte Folded Spill
	s_nop 0
	buffer_store_dword v83, off, s[64:67], 0 offset:240 ; 4-byte Folded Spill
	buffer_store_dword v84, off, s[64:67], 0 offset:244 ; 4-byte Folded Spill
	buffer_store_dword v85, off, s[64:67], 0 offset:248 ; 4-byte Folded Spill
	v_fma_f64 v[15:16], v[23:24], v[63:64], v[45:46]
	buffer_store_dword v63, off, s[64:67], 0 offset:172 ; 4-byte Folded Spill
	s_nop 0
	buffer_store_dword v64, off, s[64:67], 0 offset:176 ; 4-byte Folded Spill
	buffer_store_dword v65, off, s[64:67], 0 offset:180 ; 4-byte Folded Spill
	buffer_store_dword v66, off, s[64:67], 0 offset:184 ; 4-byte Folded Spill
	v_mul_f64 v[8:9], v[29:30], v[57:58]
	v_mul_f64 v[23:24], v[33:34], v[92:93]
	;; [unrolled: 1-line block ×3, first 2 shown]
	v_fma_f64 v[19:20], v[27:28], v[55:56], v[8:9]
	v_fma_f64 v[23:24], v[31:32], v[90:91], v[23:24]
	v_fma_f64 v[2:3], v[13:14], v[78:79], -v[2:3]
	v_fma_f64 v[6:7], v[17:18], v[59:60], -v[6:7]
	;; [unrolled: 1-line block ×3, first 2 shown]
	v_mul_f64 v[43:44], v[37:38], v[53:54]
	v_fma_f64 v[17:18], v[25:26], v[63:64], -v[47:48]
	v_mul_f64 v[47:48], v[41:42], v[69:70]
	v_mul_f64 v[21:22], v[27:28], v[57:58]
	buffer_store_dword v55, off, s[64:67], 0 offset:140 ; 4-byte Folded Spill
	s_nop 0
	buffer_store_dword v56, off, s[64:67], 0 offset:144 ; 4-byte Folded Spill
	buffer_store_dword v57, off, s[64:67], 0 offset:148 ; 4-byte Folded Spill
	;; [unrolled: 1-line block ×3, first 2 shown]
	v_mul_f64 v[25:26], v[31:32], v[92:93]
	buffer_store_dword v90, off, s[64:67], 0 offset:268 ; 4-byte Folded Spill
	s_nop 0
	buffer_store_dword v91, off, s[64:67], 0 offset:272 ; 4-byte Folded Spill
	buffer_store_dword v92, off, s[64:67], 0 offset:276 ; 4-byte Folded Spill
	;; [unrolled: 1-line block ×3, first 2 shown]
	v_fma_f64 v[27:28], v[35:36], v[51:52], v[43:44]
	buffer_store_dword v51, off, s[64:67], 0 offset:124 ; 4-byte Folded Spill
	s_nop 0
	buffer_store_dword v52, off, s[64:67], 0 offset:128 ; 4-byte Folded Spill
	buffer_store_dword v53, off, s[64:67], 0 offset:132 ; 4-byte Folded Spill
	;; [unrolled: 1-line block ×3, first 2 shown]
	v_fma_f64 v[31:32], v[39:40], v[67:68], v[47:48]
	buffer_store_dword v67, off, s[64:67], 0 offset:188 ; 4-byte Folded Spill
	s_nop 0
	buffer_store_dword v68, off, s[64:67], 0 offset:192 ; 4-byte Folded Spill
	buffer_store_dword v69, off, s[64:67], 0 offset:196 ; 4-byte Folded Spill
	;; [unrolled: 1-line block ×3, first 2 shown]
	v_fma_f64 v[21:22], v[29:30], v[55:56], -v[21:22]
	v_fma_f64 v[25:26], v[33:34], v[90:91], -v[25:26]
	;; [unrolled: 1-line block ×4, first 2 shown]
	ds_write_b128 v224, v[0:3] offset:2720
	ds_write_b128 v224, v[4:7] offset:4080
	;; [unrolled: 1-line block ×8, first 2 shown]
	s_waitcnt vmcnt(0) lgkmcnt(0)
	s_barrier
	ds_read_b128 v[0:3], v224 offset:2720
	ds_read_b128 v[4:7], v224
	ds_read_b128 v[11:14], v224 offset:5440
	ds_read_b128 v[15:18], v224 offset:8160
	;; [unrolled: 1-line block ×4, first 2 shown]
	s_waitcnt lgkmcnt(4)
	v_add_f64 v[8:9], v[4:5], v[0:1]
	ds_read_b128 v[27:30], v224 offset:6800
	ds_read_b128 v[31:34], v224 offset:9520
	s_waitcnt lgkmcnt(4)
	v_add_f64 v[39:40], v[11:12], v[15:16]
	ds_read_b128 v[35:38], v224 offset:10880
	v_add_f64 v[49:50], v[13:14], -v[17:18]
	v_add_f64 v[51:52], v[0:1], -v[11:12]
	v_add_f64 v[57:58], v[6:7], v[2:3]
	v_add_f64 v[8:9], v[8:9], v[11:12]
	v_fma_f64 v[43:44], v[39:40], -0.5, v[4:5]
	ds_read_b128 v[39:42], v224 offset:12240
	s_waitcnt lgkmcnt(1)
	v_add_f64 v[55:56], v[0:1], v[35:36]
	v_add_f64 v[45:46], v[2:3], -v[37:38]
	v_add_f64 v[53:54], v[35:36], -v[15:16]
	;; [unrolled: 1-line block ×3, first 2 shown]
	v_add_f64 v[8:9], v[8:9], v[15:16]
	v_add_f64 v[0:1], v[11:12], -v[0:1]
	v_add_f64 v[11:12], v[11:12], -v[15:16]
	v_add_f64 v[61:62], v[37:38], -v[17:18]
	v_fma_f64 v[4:5], v[55:56], -0.5, v[4:5]
	v_fma_f64 v[47:48], v[45:46], s[6:7], v[43:44]
	v_fma_f64 v[43:44], v[45:46], s[18:19], v[43:44]
	v_add_f64 v[51:52], v[51:52], v[53:54]
	v_add_f64 v[8:9], v[8:9], v[35:36]
	v_add_f64 v[35:36], v[15:16], -v[35:36]
	v_add_f64 v[53:54], v[13:14], v[17:18]
	v_add_f64 v[15:16], v[2:3], -v[13:14]
	v_fma_f64 v[55:56], v[49:50], s[18:19], v[4:5]
	v_fma_f64 v[4:5], v[49:50], s[6:7], v[4:5]
	;; [unrolled: 1-line block ×4, first 2 shown]
	v_add_f64 v[49:50], v[57:58], v[13:14]
	v_add_f64 v[0:1], v[0:1], v[35:36]
	;; [unrolled: 1-line block ×3, first 2 shown]
	v_fma_f64 v[53:54], v[53:54], -0.5, v[6:7]
	v_fma_f64 v[55:56], v[45:46], s[2:3], v[55:56]
	v_fma_f64 v[4:5], v[45:46], s[16:17], v[4:5]
	;; [unrolled: 1-line block ×4, first 2 shown]
	v_add_f64 v[45:46], v[49:50], v[17:18]
	v_add_f64 v[49:50], v[27:28], v[31:32]
	v_fma_f64 v[6:7], v[35:36], -0.5, v[6:7]
	v_fma_f64 v[57:58], v[59:60], s[18:19], v[53:54]
	v_fma_f64 v[55:56], v[0:1], s[0:1], v[55:56]
	;; [unrolled: 1-line block ×3, first 2 shown]
	v_add_f64 v[0:1], v[19:20], v[23:24]
	v_fma_f64 v[53:54], v[59:60], s[6:7], v[53:54]
	v_add_f64 v[15:16], v[15:16], v[61:62]
	v_fma_f64 v[4:5], v[49:50], -0.5, v[19:20]
	s_waitcnt lgkmcnt(0)
	v_add_f64 v[49:50], v[25:26], -v[41:42]
	v_fma_f64 v[51:52], v[11:12], s[16:17], v[57:58]
	v_add_f64 v[45:46], v[45:46], v[37:38]
	v_fma_f64 v[57:58], v[11:12], s[6:7], v[6:7]
	v_add_f64 v[0:1], v[0:1], v[27:28]
	v_add_f64 v[2:3], v[13:14], -v[2:3]
	v_add_f64 v[13:14], v[17:18], -v[37:38]
	v_fma_f64 v[6:7], v[11:12], s[18:19], v[6:7]
	v_fma_f64 v[17:18], v[49:50], s[6:7], v[4:5]
	v_add_f64 v[37:38], v[29:30], -v[33:34]
	v_add_f64 v[61:62], v[23:24], -v[27:28]
	;; [unrolled: 1-line block ×3, first 2 shown]
	v_fma_f64 v[11:12], v[11:12], s[2:3], v[53:54]
	v_add_f64 v[0:1], v[0:1], v[31:32]
	v_add_f64 v[53:54], v[23:24], v[39:40]
	v_fma_f64 v[51:52], v[15:16], s[0:1], v[51:52]
	v_fma_f64 v[57:58], v[59:60], s[16:17], v[57:58]
	v_add_f64 v[2:3], v[2:3], v[13:14]
	v_fma_f64 v[6:7], v[59:60], s[2:3], v[6:7]
	v_fma_f64 v[13:14], v[37:38], s[2:3], v[17:18]
	v_add_f64 v[17:18], v[61:62], v[63:64]
	v_fma_f64 v[59:60], v[15:16], s[0:1], v[11:12]
	v_add_f64 v[15:16], v[29:30], v[33:34]
	v_add_f64 v[61:62], v[0:1], v[39:40]
	;; [unrolled: 1-line block ×3, first 2 shown]
	v_fma_f64 v[11:12], v[53:54], -0.5, v[19:20]
	v_fma_f64 v[4:5], v[49:50], s[18:19], v[4:5]
	v_fma_f64 v[53:54], v[2:3], s[0:1], v[57:58]
	;; [unrolled: 1-line block ×4, first 2 shown]
	v_fma_f64 v[13:14], v[15:16], -0.5, v[21:22]
	v_add_f64 v[15:16], v[23:24], -v[39:40]
	v_add_f64 v[19:20], v[27:28], -v[23:24]
	;; [unrolled: 1-line block ×4, first 2 shown]
	v_fma_f64 v[0:1], v[0:1], -0.5, v[21:22]
	v_fma_f64 v[6:7], v[37:38], s[18:19], v[11:12]
	v_fma_f64 v[11:12], v[37:38], s[6:7], v[11:12]
	v_add_f64 v[21:22], v[21:22], v[25:26]
	v_fma_f64 v[4:5], v[37:38], s[16:17], v[4:5]
	v_fma_f64 v[31:32], v[15:16], s[18:19], v[13:14]
	v_add_f64 v[37:38], v[25:26], -v[29:30]
	v_add_f64 v[39:40], v[41:42], -v[33:34]
	v_add_f64 v[19:20], v[19:20], v[23:24]
	v_fma_f64 v[23:24], v[27:28], s[6:7], v[0:1]
	v_add_f64 v[25:26], v[29:30], -v[25:26]
	v_add_f64 v[63:64], v[33:34], -v[41:42]
	v_fma_f64 v[6:7], v[49:50], s[2:3], v[6:7]
	v_fma_f64 v[11:12], v[49:50], s[16:17], v[11:12]
	v_add_f64 v[21:22], v[21:22], v[29:30]
	v_fma_f64 v[13:14], v[15:16], s[6:7], v[13:14]
	v_fma_f64 v[0:1], v[27:28], s[18:19], v[0:1]
	;; [unrolled: 1-line block ×3, first 2 shown]
	v_add_f64 v[31:32], v[37:38], v[39:40]
	v_fma_f64 v[23:24], v[15:16], s[16:17], v[23:24]
	v_add_f64 v[25:26], v[25:26], v[63:64]
	v_fma_f64 v[17:18], v[17:18], s[0:1], v[4:5]
	v_fma_f64 v[4:5], v[19:20], s[0:1], v[6:7]
	;; [unrolled: 1-line block ×3, first 2 shown]
	v_add_f64 v[11:12], v[21:22], v[33:34]
	v_fma_f64 v[13:14], v[27:28], s[2:3], v[13:14]
	v_fma_f64 v[0:1], v[15:16], s[2:3], v[0:1]
	;; [unrolled: 1-line block ×4, first 2 shown]
	v_mul_f64 v[21:22], v[2:3], s[20:21]
	v_mul_f64 v[2:3], v[2:3], s[16:17]
	;; [unrolled: 1-line block ×3, first 2 shown]
	v_add_f64 v[29:30], v[11:12], v[41:42]
	v_fma_f64 v[11:12], v[31:32], s[0:1], v[13:14]
	v_fma_f64 v[13:14], v[25:26], s[0:1], v[0:1]
	v_mul_f64 v[25:26], v[6:7], s[0:1]
	v_mul_f64 v[23:24], v[19:20], s[6:7]
	v_fma_f64 v[31:32], v[15:16], s[2:3], v[21:22]
	v_mul_f64 v[21:22], v[4:5], s[18:19]
	v_fma_f64 v[49:50], v[15:16], s[20:21], v[2:3]
	v_add_f64 v[0:1], v[8:9], v[61:62]
	v_mul_f64 v[37:38], v[11:12], s[20:21]
	v_mul_f64 v[33:34], v[13:14], s[0:1]
	v_fma_f64 v[25:26], v[13:14], s[6:7], -v[25:26]
	v_fma_f64 v[39:40], v[4:5], s[0:1], v[23:24]
	v_fma_f64 v[41:42], v[11:12], s[2:3], -v[27:28]
	v_fma_f64 v[63:64], v[19:20], s[0:1], v[21:22]
	v_add_f64 v[2:3], v[45:46], v[29:30]
	v_add_f64 v[4:5], v[47:48], v[31:32]
	v_fma_f64 v[67:68], v[17:18], s[16:17], -v[37:38]
	v_fma_f64 v[65:66], v[6:7], s[18:19], -v[33:34]
	v_add_f64 v[6:7], v[51:52], v[49:50]
	v_add_f64 v[11:12], v[55:56], v[39:40]
	;; [unrolled: 1-line block ×5, first 2 shown]
	v_add_f64 v[23:24], v[8:9], -v[61:62]
	v_add_f64 v[21:22], v[59:60], v[67:68]
	v_add_f64 v[17:18], v[57:58], v[65:66]
	v_add_f64 v[35:36], v[35:36], -v[25:26]
	v_add_f64 v[25:26], v[45:46], -v[29:30]
	;; [unrolled: 1-line block ×4, first 2 shown]
	v_mul_lo_u16_e32 v8, 10, v73
	v_add_f64 v[31:32], v[55:56], -v[39:40]
	v_add_f64 v[33:34], v[53:54], -v[63:64]
	v_lshlrev_b32_e32 v255, 4, v8
	v_add_f64 v[39:40], v[43:44], -v[41:42]
	v_add_f64 v[37:38], v[57:58], -v[65:66]
	;; [unrolled: 1-line block ×3, first 2 shown]
	s_barrier
	ds_write_b128 v255, v[0:3]
	ds_write_b128 v255, v[4:7] offset:16
	ds_write_b128 v255, v[11:14] offset:32
	;; [unrolled: 1-line block ×9, first 2 shown]
	v_mul_lo_u16_sdwa v0, v73, s12 dst_sel:DWORD dst_unused:UNUSED_PAD src0_sel:BYTE_0 src1_sel:DWORD
	v_lshrrev_b16_e32 v0, 11, v0
	v_mul_lo_u16_e32 v1, 10, v0
	v_sub_u16_e32 v1, v73, v1
	v_and_b32_e32 v1, 0xff, v1
	v_lshlrev_b32_e32 v2, 6, v1
	s_waitcnt lgkmcnt(0)
	s_barrier
	global_load_dwordx4 v[132:135], v2, s[14:15]
	global_load_dwordx4 v[116:119], v2, s[14:15] offset:16
	global_load_dwordx4 v[108:111], v2, s[14:15] offset:32
	;; [unrolled: 1-line block ×3, first 2 shown]
	v_add_u16_e32 v2, 0x55, v73
	v_mul_lo_u16_sdwa v3, v2, s12 dst_sel:DWORD dst_unused:UNUSED_PAD src0_sel:BYTE_0 src1_sel:DWORD
	v_lshrrev_b16_e32 v71, 11, v3
	v_mul_lo_u16_e32 v3, 10, v71
	v_sub_u16_e32 v2, v2, v3
	v_and_b32_e32 v72, 0xff, v2
	v_lshlrev_b32_e32 v2, 6, v72
	global_load_dwordx4 v[128:131], v2, s[14:15]
	global_load_dwordx4 v[124:127], v2, s[14:15] offset:16
	global_load_dwordx4 v[120:123], v2, s[14:15] offset:32
	;; [unrolled: 1-line block ×3, first 2 shown]
	ds_read_b128 v[2:5], v224 offset:2720
	ds_read_b128 v[6:9], v224 offset:4080
	ds_read_b128 v[11:14], v224 offset:5440
	ds_read_b128 v[15:18], v224 offset:6800
	ds_read_b128 v[19:22], v224 offset:8160
	v_mul_u32_u24_e32 v0, 50, v0
	v_add_lshl_u32 v1, v0, v1, 4
	v_mul_u32_u24_e32 v0, 50, v71
	v_add_lshl_u32 v0, v0, v72, 4
	ds_read_b128 v[27:30], v224 offset:10880
	s_waitcnt vmcnt(7) lgkmcnt(5)
	v_mul_f64 v[23:24], v[4:5], v[134:135]
	s_waitcnt vmcnt(6) lgkmcnt(3)
	v_mul_f64 v[33:34], v[13:14], v[118:119]
	v_mul_f64 v[35:36], v[11:12], v[118:119]
	s_waitcnt vmcnt(5) lgkmcnt(1)
	v_mul_f64 v[39:40], v[21:22], v[110:111]
	v_mul_f64 v[41:42], v[19:20], v[110:111]
	;; [unrolled: 1-line block ×3, first 2 shown]
	v_fma_f64 v[37:38], v[2:3], v[132:133], -v[23:24]
	ds_read_b128 v[23:26], v224 offset:9520
	v_fma_f64 v[33:34], v[11:12], v[116:117], -v[33:34]
	v_fma_f64 v[35:36], v[13:14], v[116:117], v[35:36]
	s_waitcnt vmcnt(4) lgkmcnt(1)
	v_mul_f64 v[11:12], v[29:30], v[106:107]
	v_mul_f64 v[13:14], v[27:28], v[106:107]
	v_fma_f64 v[19:20], v[19:20], v[108:109], -v[39:40]
	s_waitcnt vmcnt(2)
	v_mul_f64 v[43:44], v[17:18], v[126:127]
	v_fma_f64 v[21:22], v[21:22], v[108:109], v[41:42]
	v_mul_f64 v[39:40], v[8:9], v[130:131]
	v_mul_f64 v[41:42], v[6:7], v[130:131]
	v_fma_f64 v[31:32], v[4:5], v[132:133], v[31:32]
	v_mul_f64 v[45:46], v[15:16], v[126:127]
	s_waitcnt vmcnt(1) lgkmcnt(0)
	v_mul_f64 v[49:50], v[23:24], v[122:123]
	v_fma_f64 v[27:28], v[27:28], v[104:105], -v[11:12]
	v_fma_f64 v[29:30], v[29:30], v[104:105], v[13:14]
	v_fma_f64 v[15:16], v[15:16], v[124:125], -v[43:44]
	v_add_f64 v[43:44], v[33:34], v[19:20]
	ds_read_b128 v[2:5], v224 offset:12240
	v_fma_f64 v[39:40], v[6:7], v[128:129], -v[39:40]
	v_fma_f64 v[41:42], v[8:9], v[128:129], v[41:42]
	ds_read_b128 v[6:9], v224
	ds_read_b128 v[11:14], v224 offset:1360
	v_mul_f64 v[47:48], v[25:26], v[122:123]
	v_fma_f64 v[17:18], v[17:18], v[124:125], v[45:46]
	v_fma_f64 v[25:26], v[25:26], v[120:121], v[49:50]
	s_waitcnt vmcnt(0) lgkmcnt(2)
	v_mul_f64 v[45:46], v[4:5], v[114:115]
	v_mul_f64 v[49:50], v[2:3], v[114:115]
	v_add_f64 v[51:52], v[37:38], -v[33:34]
	v_add_f64 v[53:54], v[27:28], -v[19:20]
	s_waitcnt lgkmcnt(1)
	v_fma_f64 v[43:44], v[43:44], -0.5, v[6:7]
	v_add_f64 v[55:56], v[31:32], -v[29:30]
	v_add_f64 v[59:60], v[35:36], -v[21:22]
	v_add_f64 v[65:66], v[6:7], v[37:38]
	v_fma_f64 v[2:3], v[2:3], v[112:113], -v[45:46]
	v_fma_f64 v[4:5], v[4:5], v[112:113], v[49:50]
	v_add_f64 v[49:50], v[31:32], -v[35:36]
	v_add_f64 v[45:46], v[51:52], v[53:54]
	v_add_f64 v[51:52], v[29:30], -v[21:22]
	v_fma_f64 v[53:54], v[55:56], s[6:7], v[43:44]
	v_fma_f64 v[43:44], v[55:56], s[18:19], v[43:44]
	v_add_f64 v[67:68], v[8:9], v[31:32]
	v_fma_f64 v[23:24], v[23:24], v[120:121], -v[47:48]
	v_add_f64 v[47:48], v[35:36], v[21:22]
	v_add_f64 v[65:66], v[65:66], v[33:34]
	;; [unrolled: 1-line block ×4, first 2 shown]
	v_fma_f64 v[51:52], v[59:60], s[2:3], v[53:54]
	v_add_f64 v[53:54], v[37:38], v[27:28]
	v_fma_f64 v[43:44], v[59:60], s[16:17], v[43:44]
	v_add_f64 v[67:68], v[67:68], v[35:36]
	v_fma_f64 v[47:48], v[47:48], -0.5, v[8:9]
	v_add_f64 v[57:58], v[37:38], -v[27:28]
	v_add_f64 v[63:64], v[33:34], -v[19:20]
	v_fma_f64 v[8:9], v[69:70], -0.5, v[8:9]
	v_fma_f64 v[136:137], v[45:46], s[0:1], v[51:52]
	v_fma_f64 v[6:7], v[53:54], -0.5, v[6:7]
	v_fma_f64 v[140:141], v[45:46], s[0:1], v[43:44]
	v_add_f64 v[43:44], v[65:66], v[19:20]
	v_add_f64 v[45:46], v[67:68], v[21:22]
	v_fma_f64 v[61:62], v[57:58], s[18:19], v[47:48]
	v_fma_f64 v[47:48], v[57:58], s[6:7], v[47:48]
	v_add_f64 v[33:34], v[33:34], -v[37:38]
	v_add_f64 v[19:20], v[19:20], -v[27:28]
	v_fma_f64 v[37:38], v[59:60], s[18:19], v[6:7]
	v_add_f64 v[21:22], v[21:22], -v[29:30]
	v_add_f64 v[164:165], v[43:44], v[27:28]
	v_add_f64 v[166:167], v[45:46], v[29:30]
	v_add_f64 v[27:28], v[35:36], -v[31:32]
	v_fma_f64 v[29:30], v[63:64], s[6:7], v[8:9]
	v_add_f64 v[31:32], v[15:16], v[23:24]
	v_fma_f64 v[61:62], v[63:64], s[16:17], v[61:62]
	v_fma_f64 v[47:48], v[63:64], s[2:3], v[47:48]
	;; [unrolled: 1-line block ×4, first 2 shown]
	v_add_f64 v[19:20], v[33:34], v[19:20]
	v_add_f64 v[33:34], v[17:18], v[25:26]
	v_fma_f64 v[35:36], v[55:56], s[2:3], v[37:38]
	v_add_f64 v[21:22], v[27:28], v[21:22]
	v_fma_f64 v[27:28], v[57:58], s[16:17], v[29:30]
	s_waitcnt lgkmcnt(0)
	v_fma_f64 v[29:30], v[31:32], -0.5, v[11:12]
	v_add_f64 v[31:32], v[41:42], -v[4:5]
	v_fma_f64 v[138:139], v[49:50], s[0:1], v[61:62]
	v_fma_f64 v[142:143], v[49:50], s[0:1], v[47:48]
	;; [unrolled: 1-line block ×4, first 2 shown]
	v_fma_f64 v[33:34], v[33:34], -0.5, v[13:14]
	v_add_f64 v[37:38], v[39:40], -v[2:3]
	v_fma_f64 v[144:145], v[19:20], s[0:1], v[35:36]
	v_add_f64 v[35:36], v[39:40], -v[15:16]
	v_add_f64 v[43:44], v[2:3], -v[23:24]
	v_fma_f64 v[47:48], v[31:32], s[6:7], v[29:30]
	v_add_f64 v[49:50], v[17:18], -v[25:26]
	v_add_f64 v[45:46], v[41:42], -v[17:18]
	;; [unrolled: 1-line block ×3, first 2 shown]
	v_fma_f64 v[53:54], v[37:38], s[18:19], v[33:34]
	v_add_f64 v[55:56], v[15:16], -v[23:24]
	v_fma_f64 v[148:149], v[19:20], s[0:1], v[6:7]
	v_fma_f64 v[150:151], v[21:22], s[0:1], v[8:9]
	v_add_f64 v[6:7], v[35:36], v[43:44]
	v_fma_f64 v[8:9], v[49:50], s[2:3], v[47:48]
	v_add_f64 v[19:20], v[39:40], v[2:3]
	v_add_f64 v[35:36], v[41:42], v[4:5]
	v_fma_f64 v[146:147], v[21:22], s[0:1], v[27:28]
	v_add_f64 v[21:22], v[45:46], v[51:52]
	v_fma_f64 v[27:28], v[55:56], s[16:17], v[53:54]
	v_fma_f64 v[29:30], v[31:32], s[18:19], v[29:30]
	;; [unrolled: 1-line block ×3, first 2 shown]
	v_add_f64 v[43:44], v[11:12], v[39:40]
	v_fma_f64 v[152:153], v[6:7], s[0:1], v[8:9]
	v_fma_f64 v[8:9], v[19:20], -0.5, v[11:12]
	v_add_f64 v[11:12], v[13:14], v[41:42]
	v_fma_f64 v[13:14], v[35:36], -0.5, v[13:14]
	v_fma_f64 v[154:155], v[21:22], s[0:1], v[27:28]
	v_fma_f64 v[19:20], v[49:50], s[16:17], v[29:30]
	;; [unrolled: 1-line block ×3, first 2 shown]
	v_add_f64 v[29:30], v[43:44], v[15:16]
	v_add_f64 v[15:16], v[15:16], -v[39:40]
	v_fma_f64 v[33:34], v[49:50], s[18:19], v[8:9]
	v_add_f64 v[11:12], v[11:12], v[17:18]
	v_add_f64 v[35:36], v[23:24], -v[2:3]
	v_add_f64 v[17:18], v[17:18], -v[41:42]
	;; [unrolled: 1-line block ×3, first 2 shown]
	v_fma_f64 v[41:42], v[55:56], s[6:7], v[13:14]
	v_fma_f64 v[8:9], v[49:50], s[6:7], v[8:9]
	;; [unrolled: 1-line block ×3, first 2 shown]
	v_add_f64 v[23:24], v[29:30], v[23:24]
	v_add_f64 v[11:12], v[11:12], v[25:26]
	;; [unrolled: 1-line block ×3, first 2 shown]
	v_fma_f64 v[25:26], v[31:32], s[2:3], v[33:34]
	v_add_f64 v[17:18], v[17:18], v[39:40]
	v_fma_f64 v[29:30], v[37:38], s[16:17], v[41:42]
	v_fma_f64 v[8:9], v[31:32], s[16:17], v[8:9]
	;; [unrolled: 1-line block ×5, first 2 shown]
	v_add_f64 v[156:157], v[23:24], v[2:3]
	v_add_f64 v[158:159], v[11:12], v[4:5]
	v_fma_f64 v[160:161], v[15:16], s[0:1], v[25:26]
	v_fma_f64 v[162:163], v[17:18], s[0:1], v[29:30]
	;; [unrolled: 1-line block ×4, first 2 shown]
	v_cmp_gt_u16_e64 s[0:1], 50, v73
	s_barrier
	ds_write_b128 v1, v[164:167]
	ds_write_b128 v1, v[136:139] offset:160
	ds_write_b128 v1, v[144:147] offset:320
	;; [unrolled: 1-line block ×3, first 2 shown]
	buffer_store_dword v1, off, s[64:67], 0 offset:284 ; 4-byte Folded Spill
	ds_write_b128 v1, v[140:143] offset:640
	ds_write_b128 v0, v[156:159]
	ds_write_b128 v0, v[152:155] offset:160
	ds_write_b128 v0, v[160:163] offset:320
	;; [unrolled: 1-line block ×3, first 2 shown]
	buffer_store_dword v0, off, s[64:67], 0 offset:288 ; 4-byte Folded Spill
	ds_write_b128 v0, v[172:175] offset:640
	s_waitcnt vmcnt(0) lgkmcnt(0)
	s_barrier
	buffer_store_dword v73, off, s[64:67], 0 offset:120 ; 4-byte Folded Spill
	s_and_saveexec_b64 s[2:3], s[0:1]
	s_cbranch_execz .LBB0_3
; %bb.2:
	ds_read_b128 v[164:167], v224
	ds_read_b128 v[136:139], v224 offset:800
	ds_read_b128 v[144:147], v224 offset:1600
	;; [unrolled: 1-line block ×16, first 2 shown]
.LBB0_3:
	s_or_b64 exec, exec, s[2:3]
	s_movk_i32 s2, 0xfce0
	v_add_co_u32_e64 v0, s[2:3], s2, v224
	v_addc_co_u32_e64 v1, s[2:3], 0, -1, s[2:3]
	v_cndmask_b32_e64 v1, v1, 0, s[0:1]
	v_cndmask_b32_e64 v0, v0, v224, s[0:1]
	v_lshlrev_b64 v[0:1], 4, v[0:1]
	v_mov_b32_e32 v2, s15
	v_add_co_u32_e64 v0, s[2:3], s14, v0
	v_addc_co_u32_e64 v1, s[2:3], v2, v1, s[2:3]
	global_load_dwordx4 v[69:72], v[0:1], off offset:640
	global_load_dwordx4 v[65:68], v[0:1], off offset:656
	global_load_dwordx4 v[73:76], v[0:1], off offset:672
	global_load_dwordx4 v[77:80], v[0:1], off offset:688
	global_load_dwordx4 v[81:84], v[0:1], off offset:704
	global_load_dwordx4 v[93:96], v[0:1], off offset:720
	global_load_dwordx4 v[212:215], v[0:1], off offset:736
	global_load_dwordx4 v[225:228], v[0:1], off offset:752
	global_load_dwordx4 v[229:232], v[0:1], off offset:768
	global_load_dwordx4 v[220:223], v[0:1], off offset:784
	global_load_dwordx4 v[216:219], v[0:1], off offset:800
	global_load_dwordx4 v[204:207], v[0:1], off offset:816
	global_load_dwordx4 v[208:211], v[0:1], off offset:832
	global_load_dwordx4 v[85:88], v[0:1], off offset:848
	global_load_dwordx4 v[89:92], v[0:1], off offset:864
	global_load_dwordx4 v[97:100], v[0:1], off offset:880
	s_mov_b32 s30, 0x5d8e7cdc
	s_mov_b32 s24, 0x2a9d6da3
	;; [unrolled: 1-line block ×48, first 2 shown]
	s_waitcnt vmcnt(15) lgkmcnt(14)
	v_mul_f64 v[0:1], v[138:139], v[71:72]
	s_waitcnt vmcnt(14)
	v_mul_f64 v[4:5], v[146:147], v[67:68]
	s_waitcnt vmcnt(13) lgkmcnt(13)
	v_mul_f64 v[8:9], v[150:151], v[75:76]
	s_waitcnt vmcnt(12) lgkmcnt(12)
	v_mul_f64 v[13:14], v[142:143], v[79:80]
	v_mul_f64 v[2:3], v[136:137], v[71:72]
	;; [unrolled: 1-line block ×5, first 2 shown]
	v_fma_f64 v[0:1], v[136:137], v[69:70], -v[0:1]
	buffer_store_dword v69, off, s[64:67], 0 offset:308 ; 4-byte Folded Spill
	s_nop 0
	buffer_store_dword v70, off, s[64:67], 0 offset:312 ; 4-byte Folded Spill
	buffer_store_dword v71, off, s[64:67], 0 offset:316 ; 4-byte Folded Spill
	buffer_store_dword v72, off, s[64:67], 0 offset:320 ; 4-byte Folded Spill
	v_fma_f64 v[144:145], v[144:145], v[65:66], -v[4:5]
	buffer_store_dword v65, off, s[64:67], 0 offset:292 ; 4-byte Folded Spill
	s_nop 0
	buffer_store_dword v66, off, s[64:67], 0 offset:296 ; 4-byte Folded Spill
	buffer_store_dword v67, off, s[64:67], 0 offset:300 ; 4-byte Folded Spill
	buffer_store_dword v68, off, s[64:67], 0 offset:304 ; 4-byte Folded Spill
	;; [unrolled: 6-line block ×4, first 2 shown]
	s_waitcnt vmcnt(27) lgkmcnt(11)
	v_mul_f64 v[17:18], v[158:159], v[83:84]
	s_waitcnt vmcnt(26) lgkmcnt(10)
	v_mul_f64 v[21:22], v[154:155], v[95:96]
	v_mul_f64 v[19:20], v[156:157], v[83:84]
	;; [unrolled: 1-line block ×3, first 2 shown]
	s_waitcnt vmcnt(25) lgkmcnt(9)
	v_mul_f64 v[25:26], v[162:163], v[214:215]
	s_waitcnt vmcnt(16) lgkmcnt(0)
	v_mul_f64 v[63:64], v[200:201], v[99:100]
	v_mul_f64 v[27:28], v[160:161], v[214:215]
	;; [unrolled: 1-line block ×3, first 2 shown]
	v_fma_f64 v[79:80], v[156:157], v[81:82], -v[17:18]
	buffer_store_dword v81, off, s[64:67], 0 offset:356 ; 4-byte Folded Spill
	s_nop 0
	buffer_store_dword v82, off, s[64:67], 0 offset:360 ; 4-byte Folded Spill
	buffer_store_dword v83, off, s[64:67], 0 offset:364 ; 4-byte Folded Spill
	;; [unrolled: 1-line block ×3, first 2 shown]
	v_mul_f64 v[29:30], v[170:171], v[227:228]
	v_mul_f64 v[33:34], v[174:175], v[231:232]
	;; [unrolled: 1-line block ×16, first 2 shown]
	v_fma_f64 v[2:3], v[138:139], v[69:70], v[2:3]
	v_fma_f64 v[69:70], v[168:169], v[225:226], -v[29:30]
	v_fma_f64 v[233:234], v[146:147], v[65:66], v[6:7]
	v_fma_f64 v[65:66], v[172:173], v[229:230], -v[33:34]
	;; [unrolled: 2-line block ×4, first 2 shown]
	buffer_store_dword v93, off, s[64:67], 0 offset:404 ; 4-byte Folded Spill
	s_nop 0
	buffer_store_dword v94, off, s[64:67], 0 offset:408 ; 4-byte Folded Spill
	buffer_store_dword v95, off, s[64:67], 0 offset:412 ; 4-byte Folded Spill
	;; [unrolled: 1-line block ×4, first 2 shown]
	s_nop 0
	buffer_store_dword v213, off, s[64:67], 0 offset:472 ; 4-byte Folded Spill
	buffer_store_dword v214, off, s[64:67], 0 offset:476 ; 4-byte Folded Spill
	;; [unrolled: 1-line block ×3, first 2 shown]
	v_fma_f64 v[83:84], v[158:159], v[81:82], v[19:20]
	v_fma_f64 v[81:82], v[154:155], v[93:94], v[23:24]
	;; [unrolled: 1-line block ×3, first 2 shown]
	buffer_store_dword v97, off, s[64:67], 0 offset:420 ; 4-byte Folded Spill
	s_nop 0
	buffer_store_dword v98, off, s[64:67], 0 offset:424 ; 4-byte Folded Spill
	buffer_store_dword v99, off, s[64:67], 0 offset:428 ; 4-byte Folded Spill
	buffer_store_dword v100, off, s[64:67], 0 offset:432 ; 4-byte Folded Spill
	buffer_store_dword v225, off, s[64:67], 0 offset:516 ; 4-byte Folded Spill
	s_nop 0
	buffer_store_dword v226, off, s[64:67], 0 offset:520 ; 4-byte Folded Spill
	buffer_store_dword v227, off, s[64:67], 0 offset:524 ; 4-byte Folded Spill
	buffer_store_dword v228, off, s[64:67], 0 offset:528 ; 4-byte Folded Spill
	buffer_store_dword v229, off, s[64:67], 0 offset:532 ; 4-byte Folded Spill
	s_nop 0
	buffer_store_dword v230, off, s[64:67], 0 offset:536 ; 4-byte Folded Spill
	buffer_store_dword v231, off, s[64:67], 0 offset:540 ; 4-byte Folded Spill
	buffer_store_dword v232, off, s[64:67], 0 offset:544 ; 4-byte Folded Spill
	v_fma_f64 v[75:76], v[162:163], v[212:213], v[27:28]
	v_fma_f64 v[26:27], v[196:197], v[89:90], -v[57:58]
	v_add_f64 v[168:169], v[2:3], -v[24:25]
	v_mul_f64 v[4:5], v[168:169], s[24:25]
	v_mul_f64 v[241:242], v[168:169], s[28:29]
	v_fma_f64 v[22:23], v[200:201], v[97:98], -v[61:62]
	v_fma_f64 v[61:62], v[176:177], v[220:221], -v[37:38]
	buffer_store_dword v220, off, s[64:67], 0 offset:500 ; 4-byte Folded Spill
	s_nop 0
	buffer_store_dword v221, off, s[64:67], 0 offset:504 ; 4-byte Folded Spill
	buffer_store_dword v222, off, s[64:67], 0 offset:508 ; 4-byte Folded Spill
	;; [unrolled: 1-line block ×3, first 2 shown]
	v_fma_f64 v[71:72], v[170:171], v[225:226], v[31:32]
	v_fma_f64 v[30:31], v[184:185], v[204:205], -v[45:46]
	v_fma_f64 v[32:33], v[188:189], v[208:209], -v[49:50]
	v_fma_f64 v[67:68], v[174:175], v[229:230], v[35:36]
	v_fma_f64 v[34:35], v[192:193], v[85:86], -v[53:54]
	v_add_f64 v[172:173], v[0:1], -v[22:23]
	v_add_f64 v[174:175], v[144:145], -v[26:27]
	;; [unrolled: 1-line block ×3, first 2 shown]
	v_mul_f64 v[6:7], v[172:173], s[24:25]
	v_mul_f64 v[16:17], v[174:175], s[24:25]
	;; [unrolled: 1-line block ×7, first 2 shown]
	v_fma_f64 v[63:64], v[178:179], v[220:221], v[39:40]
	v_fma_f64 v[40:41], v[180:181], v[216:217], -v[41:42]
	buffer_store_dword v216, off, s[64:67], 0 offset:484 ; 4-byte Folded Spill
	s_nop 0
	buffer_store_dword v217, off, s[64:67], 0 offset:488 ; 4-byte Folded Spill
	buffer_store_dword v218, off, s[64:67], 0 offset:492 ; 4-byte Folded Spill
	;; [unrolled: 1-line block ×4, first 2 shown]
	s_nop 0
	buffer_store_dword v205, off, s[64:67], 0 offset:440 ; 4-byte Folded Spill
	buffer_store_dword v206, off, s[64:67], 0 offset:444 ; 4-byte Folded Spill
	;; [unrolled: 1-line block ×4, first 2 shown]
	s_nop 0
	buffer_store_dword v1, off, s[64:67], 0 offset:752 ; 4-byte Folded Spill
	buffer_store_dword v2, off, s[64:67], 0 offset:764 ; 4-byte Folded Spill
	s_nop 0
	buffer_store_dword v3, off, s[64:67], 0 offset:768 ; 4-byte Folded Spill
	buffer_store_dword v208, off, s[64:67], 0 offset:452 ; 4-byte Folded Spill
	;; [unrolled: 3-line block ×3, first 2 shown]
	buffer_store_dword v211, off, s[64:67], 0 offset:464 ; 4-byte Folded Spill
	buffer_store_dword v89, off, s[64:67], 0 offset:388 ; 4-byte Folded Spill
	s_nop 0
	buffer_store_dword v90, off, s[64:67], 0 offset:392 ; 4-byte Folded Spill
	buffer_store_dword v91, off, s[64:67], 0 offset:396 ; 4-byte Folded Spill
	;; [unrolled: 1-line block ×3, first 2 shown]
	v_add_f64 v[235:236], v[75:76], -v[63:64]
	v_add_f64 v[178:179], v[73:74], -v[61:62]
	v_mul_f64 v[210:211], v[172:173], s[28:29]
	v_mul_f64 v[251:252], v[235:236], s[58:59]
	;; [unrolled: 1-line block ×4, first 2 shown]
	v_fma_f64 v[42:43], v[182:183], v[216:217], v[43:44]
	v_fma_f64 v[18:19], v[186:187], v[204:205], v[47:48]
	v_mul_f64 v[46:47], v[8:9], s[26:27]
	v_add_f64 v[204:205], v[77:78], -v[40:41]
	v_add_f64 v[253:254], v[0:1], v[22:23]
	v_add_f64 v[225:226], v[2:3], v[24:25]
	v_mul_f64 v[0:1], v[168:169], s[30:31]
	v_mul_f64 v[2:3], v[172:173], s[30:31]
	buffer_store_dword v0, off, s[64:67], 0 offset:652 ; 4-byte Folded Spill
	s_nop 0
	buffer_store_dword v1, off, s[64:67], 0 offset:656 ; 4-byte Folded Spill
	buffer_store_dword v2, off, s[64:67], 0 offset:668 ; 4-byte Folded Spill
	s_nop 0
	buffer_store_dword v3, off, s[64:67], 0 offset:672 ; 4-byte Folded Spill
	;; [unrolled: 3-line block ×5, first 2 shown]
	buffer_store_dword v87, off, s[64:67], 0 offset:380 ; 4-byte Folded Spill
	buffer_store_dword v88, off, s[64:67], 0 offset:384 ; 4-byte Folded Spill
	v_fma_f64 v[28:29], v[198:199], v[89:90], v[59:60]
	buffer_store_dword v144, off, s[64:67], 0 offset:732 ; 4-byte Folded Spill
	s_nop 0
	buffer_store_dword v145, off, s[64:67], 0 offset:736 ; 4-byte Folded Spill
	v_fma_f64 v[38:39], v[190:191], v[208:209], v[51:52]
	v_add_f64 v[245:246], v[83:84], -v[18:19]
	v_add_f64 v[192:193], v[81:82], -v[42:43]
	v_mul_f64 v[50:51], v[174:175], s[28:29]
	v_add_f64 v[52:53], v[69:70], -v[65:66]
	v_mul_f64 v[216:217], v[8:9], s[50:51]
	v_add_f64 v[170:171], v[233:234], -v[28:29]
	buffer_store_dword v233, off, s[64:67], 0 offset:756 ; 4-byte Folded Spill
	s_nop 0
	buffer_store_dword v234, off, s[64:67], 0 offset:760 ; 4-byte Folded Spill
	v_add_f64 v[36:37], v[138:139], -v[38:39]
	v_mul_f64 v[247:248], v[245:246], s[26:27]
	v_mul_f64 v[249:250], v[192:193], s[42:43]
	;; [unrolled: 1-line block ×10, first 2 shown]
	v_fma_f64 v[0:1], v[253:254], s[2:3], v[0:1]
	v_fma_f64 v[2:3], v[225:226], s[2:3], -v[2:3]
	v_fma_f64 v[20:21], v[194:195], v[85:86], v[55:56]
	v_fma_f64 v[6:7], v[225:226], s[16:17], -v[6:7]
	v_fma_f64 v[4:5], v[253:254], s[16:17], v[4:5]
	v_mul_f64 v[54:55], v[172:173], s[38:39]
	v_add_f64 v[196:197], v[144:145], v[26:27]
	v_mul_f64 v[56:57], v[174:175], s[52:53]
	v_add_f64 v[14:15], v[164:165], v[0:1]
	v_add_f64 v[2:3], v[166:167], v[2:3]
	v_add_f64 v[12:13], v[146:147], -v[20:21]
	v_add_f64 v[0:1], v[166:167], v[6:7]
	v_mul_f64 v[6:7], v[170:171], s[24:25]
	buffer_store_dword v6, off, s[64:67], 0 offset:780 ; 4-byte Folded Spill
	s_nop 0
	buffer_store_dword v7, off, s[64:67], 0 offset:784 ; 4-byte Folded Spill
	buffer_store_dword v16, off, s[64:67], 0 offset:788 ; 4-byte Folded Spill
	s_nop 0
	buffer_store_dword v17, off, s[64:67], 0 offset:792 ; 4-byte Folded Spill
	;; [unrolled: 3-line block ×5, first 2 shown]
	v_mul_f64 v[44:45], v[12:13], s[26:27]
	buffer_store_dword v44, off, s[64:67], 0 offset:796 ; 4-byte Folded Spill
	s_nop 0
	buffer_store_dword v45, off, s[64:67], 0 offset:800 ; 4-byte Folded Spill
	buffer_store_dword v46, off, s[64:67], 0 offset:804 ; 4-byte Folded Spill
	s_nop 0
	buffer_store_dword v47, off, s[64:67], 0 offset:808 ; 4-byte Folded Spill
	v_add_f64 v[198:199], v[233:234], v[28:29]
	v_add_f64 v[4:5], v[164:165], v[4:5]
	v_mul_f64 v[184:185], v[12:13], s[50:51]
	v_mul_f64 v[233:234], v[52:53], s[54:55]
	;; [unrolled: 1-line block ×3, first 2 shown]
	v_fma_f64 v[140:141], v[198:199], s[6:7], -v[150:151]
	v_fma_f64 v[6:7], v[196:197], s[16:17], v[6:7]
	v_fma_f64 v[16:17], v[198:199], s[16:17], -v[16:17]
	v_add_f64 v[194:195], v[136:137], v[34:35]
	v_add_f64 v[229:230], v[146:147], v[20:21]
	v_add_f64 v[20:21], v[101:102], -v[32:33]
	buffer_store_dword v101, off, s[64:67], 0 offset:700 ; 4-byte Folded Spill
	s_nop 0
	buffer_store_dword v102, off, s[64:67], 0 offset:704 ; 4-byte Folded Spill
	buffer_store_dword v38, off, s[64:67], 0 offset:556 ; 4-byte Folded Spill
	s_nop 0
	buffer_store_dword v39, off, s[64:67], 0 offset:560 ; 4-byte Folded Spill
	;; [unrolled: 3-line block ×3, first 2 shown]
	v_mul_f64 v[136:137], v[168:169], s[42:43]
	v_add_f64 v[6:7], v[6:7], v[14:15]
	v_add_f64 v[2:3], v[16:17], v[2:3]
	v_fma_f64 v[14:15], v[194:195], s[6:7], v[44:45]
	v_fma_f64 v[16:17], v[229:230], s[6:7], -v[46:47]
	v_mul_f64 v[44:45], v[36:37], s[28:29]
	v_mul_f64 v[46:47], v[20:21], s[28:29]
	buffer_store_dword v44, off, s[64:67], 0 offset:812 ; 4-byte Folded Spill
	s_nop 0
	buffer_store_dword v45, off, s[64:67], 0 offset:816 ; 4-byte Folded Spill
	buffer_store_dword v46, off, s[64:67], 0 offset:820 ; 4-byte Folded Spill
	s_nop 0
	buffer_store_dword v47, off, s[64:67], 0 offset:824 ; 4-byte Folded Spill
	v_add_f64 v[6:7], v[14:15], v[6:7]
	v_add_f64 v[2:3], v[16:17], v[2:3]
	v_mul_f64 v[214:215], v[20:21], s[48:49]
	v_mul_f64 v[58:59], v[20:21], s[26:27]
	;; [unrolled: 1-line block ×3, first 2 shown]
	v_add_f64 v[202:203], v[101:102], v[32:33]
	v_add_f64 v[176:177], v[138:139], v[38:39]
	v_add_f64 v[38:39], v[79:80], -v[30:31]
	buffer_store_dword v79, off, s[64:67], 0 offset:684 ; 4-byte Folded Spill
	s_nop 0
	buffer_store_dword v80, off, s[64:67], 0 offset:688 ; 4-byte Folded Spill
	buffer_store_dword v18, off, s[64:67], 0 offset:548 ; 4-byte Folded Spill
	s_nop 0
	buffer_store_dword v19, off, s[64:67], 0 offset:552 ; 4-byte Folded Spill
	;; [unrolled: 3-line block ×4, first 2 shown]
	v_mul_f64 v[100:101], v[178:179], s[44:45]
	v_mul_f64 v[138:139], v[170:171], s[46:47]
	;; [unrolled: 1-line block ×5, first 2 shown]
	v_fma_f64 v[14:15], v[202:203], s[14:15], v[44:45]
	v_fma_f64 v[16:17], v[176:177], s[14:15], -v[46:47]
	v_mul_f64 v[44:45], v[245:246], s[38:39]
	v_mul_f64 v[46:47], v[38:39], s[38:39]
	buffer_store_dword v44, off, s[64:67], 0 offset:836 ; 4-byte Folded Spill
	s_nop 0
	buffer_store_dword v45, off, s[64:67], 0 offset:840 ; 4-byte Folded Spill
	buffer_store_dword v46, off, s[64:67], 0 offset:844 ; 4-byte Folded Spill
	s_nop 0
	buffer_store_dword v47, off, s[64:67], 0 offset:848 ; 4-byte Folded Spill
	;; [unrolled: 3-line block ×7, first 2 shown]
	v_add_f64 v[6:7], v[14:15], v[6:7]
	v_add_f64 v[2:3], v[16:17], v[2:3]
	;; [unrolled: 1-line block ×4, first 2 shown]
	v_fma_f64 v[18:19], v[196:197], s[14:15], v[48:49]
	v_add_f64 v[4:5], v[18:19], v[4:5]
	v_fma_f64 v[14:15], v[200:201], s[18:19], v[44:45]
	v_fma_f64 v[16:17], v[180:181], s[18:19], -v[46:47]
	v_add_f64 v[186:187], v[77:78], v[40:41]
	v_add_f64 v[188:189], v[81:82], v[42:43]
	v_mul_f64 v[40:41], v[192:193], s[40:41]
	v_mul_f64 v[42:43], v[204:205], s[40:41]
	buffer_store_dword v40, off, s[64:67], 0 offset:852 ; 4-byte Folded Spill
	s_nop 0
	buffer_store_dword v41, off, s[64:67], 0 offset:856 ; 4-byte Folded Spill
	buffer_store_dword v42, off, s[64:67], 0 offset:860 ; 4-byte Folded Spill
	s_nop 0
	buffer_store_dword v43, off, s[64:67], 0 offset:864 ; 4-byte Folded Spill
	v_add_f64 v[6:7], v[14:15], v[6:7]
	v_add_f64 v[2:3], v[16:17], v[2:3]
	buffer_store_dword v61, off, s[64:67], 0 offset:588 ; 4-byte Folded Spill
	s_nop 0
	buffer_store_dword v62, off, s[64:67], 0 offset:592 ; 4-byte Folded Spill
	buffer_store_dword v73, off, s[64:67], 0 offset:636 ; 4-byte Folded Spill
	s_nop 0
	buffer_store_dword v74, off, s[64:67], 0 offset:640 ; 4-byte Folded Spill
	buffer_store_dword v63, off, s[64:67], 0 offset:596 ; 4-byte Folded Spill
	s_nop 0
	buffer_store_dword v64, off, s[64:67], 0 offset:600 ; 4-byte Folded Spill
	buffer_store_dword v75, off, s[64:67], 0 offset:644 ; 4-byte Folded Spill
	s_nop 0
	buffer_store_dword v76, off, s[64:67], 0 offset:648 ; 4-byte Folded Spill
	v_fma_f64 v[18:19], v[198:199], s[14:15], -v[50:51]
	v_mul_f64 v[78:79], v[12:13], s[30:31]
	v_add_f64 v[0:1], v[18:19], v[0:1]
	v_mul_f64 v[18:19], v[12:13], s[40:41]
	v_fma_f64 v[14:15], v[186:187], s[20:21], v[40:41]
	v_fma_f64 v[16:17], v[188:189], s[20:21], -v[42:43]
	v_mul_f64 v[40:41], v[235:236], s[42:43]
	v_mul_f64 v[42:43], v[178:179], s[42:43]
	buffer_store_dword v40, off, s[64:67], 0 offset:868 ; 4-byte Folded Spill
	s_nop 0
	buffer_store_dword v41, off, s[64:67], 0 offset:872 ; 4-byte Folded Spill
	buffer_store_dword v42, off, s[64:67], 0 offset:876 ; 4-byte Folded Spill
	s_nop 0
	buffer_store_dword v43, off, s[64:67], 0 offset:880 ; 4-byte Folded Spill
	v_add_f64 v[206:207], v[73:74], v[61:62]
	v_add_f64 v[208:209], v[75:76], v[63:64]
	v_add_f64 v[60:61], v[71:72], -v[67:68]
	v_add_f64 v[6:7], v[14:15], v[6:7]
	v_add_f64 v[2:3], v[16:17], v[2:3]
	buffer_store_dword v65, off, s[64:67], 0 offset:604 ; 4-byte Folded Spill
	s_nop 0
	buffer_store_dword v66, off, s[64:67], 0 offset:608 ; 4-byte Folded Spill
	buffer_store_dword v69, off, s[64:67], 0 offset:620 ; 4-byte Folded Spill
	s_nop 0
	buffer_store_dword v70, off, s[64:67], 0 offset:624 ; 4-byte Folded Spill
	;; [unrolled: 3-line block ×4, first 2 shown]
	v_mul_f64 v[62:63], v[8:9], s[54:55]
	v_mul_f64 v[74:75], v[170:171], s[50:51]
	v_fma_f64 v[76:77], v[198:199], s[18:19], -v[90:91]
	v_mul_f64 v[190:191], v[60:61], s[54:55]
	v_fma_f64 v[14:15], v[206:207], s[22:23], v[40:41]
	v_fma_f64 v[16:17], v[208:209], s[22:23], -v[42:43]
	v_mul_f64 v[40:41], v[60:61], s[44:45]
	v_mul_f64 v[42:43], v[52:53], s[44:45]
	buffer_store_dword v40, off, s[64:67], 0 offset:884 ; 4-byte Folded Spill
	s_nop 0
	buffer_store_dword v41, off, s[64:67], 0 offset:888 ; 4-byte Folded Spill
	buffer_store_dword v42, off, s[64:67], 0 offset:892 ; 4-byte Folded Spill
	s_nop 0
	buffer_store_dword v43, off, s[64:67], 0 offset:896 ; 4-byte Folded Spill
	v_add_f64 v[220:221], v[69:70], v[65:66]
	v_add_f64 v[222:223], v[71:72], v[67:68]
	v_add_f64 v[6:7], v[14:15], v[6:7]
	v_add_f64 v[2:3], v[16:17], v[2:3]
	v_mul_f64 v[64:65], v[38:39], s[44:45]
	v_mul_f64 v[66:67], v[204:205], s[60:61]
	;; [unrolled: 1-line block ×4, first 2 shown]
	v_fma_f64 v[14:15], v[220:221], s[34:35], v[40:41]
	v_fma_f64 v[16:17], v[222:223], s[34:35], -v[42:43]
	v_fma_f64 v[40:41], v[198:199], s[22:23], -v[56:57]
	v_mul_f64 v[42:43], v[12:13], s[54:55]
	v_add_f64 v[14:15], v[14:15], v[6:7]
	v_add_f64 v[16:17], v[16:17], v[2:3]
	buffer_store_dword v14, off, s[64:67], 0 ; 4-byte Folded Spill
	s_nop 0
	buffer_store_dword v15, off, s[64:67], 0 offset:4 ; 4-byte Folded Spill
	buffer_store_dword v16, off, s[64:67], 0 offset:8 ; 4-byte Folded Spill
	;; [unrolled: 1-line block ×4, first 2 shown]
	s_nop 0
	buffer_store_dword v19, off, s[64:67], 0 offset:912 ; 4-byte Folded Spill
	v_mul_f64 v[6:7], v[8:9], s[40:41]
	buffer_store_dword v6, off, s[64:67], 0 offset:1012 ; 4-byte Folded Spill
	s_nop 0
	buffer_store_dword v7, off, s[64:67], 0 offset:1016 ; 4-byte Folded Spill
	v_fma_f64 v[2:3], v[194:195], s[20:21], v[18:19]
	v_add_f64 v[2:3], v[2:3], v[4:5]
	v_fma_f64 v[4:5], v[229:230], s[20:21], -v[6:7]
	v_add_f64 v[0:1], v[4:5], v[0:1]
	v_mul_f64 v[4:5], v[36:37], s[44:45]
	buffer_store_dword v4, off, s[64:67], 0 offset:916 ; 4-byte Folded Spill
	s_nop 0
	buffer_store_dword v5, off, s[64:67], 0 offset:920 ; 4-byte Folded Spill
	v_fma_f64 v[4:5], v[202:203], s[34:35], v[4:5]
	v_add_f64 v[2:3], v[4:5], v[2:3]
	v_mul_f64 v[4:5], v[20:21], s[44:45]
	buffer_store_dword v4, off, s[64:67], 0 offset:1020 ; 4-byte Folded Spill
	s_nop 0
	buffer_store_dword v5, off, s[64:67], 0 offset:1024 ; 4-byte Folded Spill
	v_fma_f64 v[4:5], v[176:177], s[34:35], -v[4:5]
	v_add_f64 v[0:1], v[4:5], v[0:1]
	v_mul_f64 v[4:5], v[245:246], s[52:53]
	buffer_store_dword v4, off, s[64:67], 0 offset:924 ; 4-byte Folded Spill
	s_nop 0
	buffer_store_dword v5, off, s[64:67], 0 offset:928 ; 4-byte Folded Spill
	v_fma_f64 v[4:5], v[200:201], s[22:23], v[4:5]
	v_add_f64 v[2:3], v[4:5], v[2:3]
	v_mul_f64 v[4:5], v[38:39], s[52:53]
	buffer_store_dword v4, off, s[64:67], 0 offset:1028 ; 4-byte Folded Spill
	s_nop 0
	buffer_store_dword v5, off, s[64:67], 0 offset:1032 ; 4-byte Folded Spill
	;; [unrolled: 12-line block ×5, first 2 shown]
	v_fma_f64 v[2:3], v[222:223], s[2:3], -v[2:3]
	v_add_f64 v[6:7], v[2:3], v[0:1]
	v_mul_f64 v[0:1], v[168:169], s[26:27]
	buffer_store_dword v4, off, s[64:67], 0 offset:16 ; 4-byte Folded Spill
	s_nop 0
	buffer_store_dword v5, off, s[64:67], 0 offset:20 ; 4-byte Folded Spill
	buffer_store_dword v6, off, s[64:67], 0 offset:24 ; 4-byte Folded Spill
	;; [unrolled: 1-line block ×4, first 2 shown]
	s_nop 0
	buffer_store_dword v1, off, s[64:67], 0 offset:1040 ; 4-byte Folded Spill
	v_mul_f64 v[2:3], v[170:171], s[40:41]
	buffer_store_dword v2, off, s[64:67], 0 offset:1044 ; 4-byte Folded Spill
	s_nop 0
	buffer_store_dword v3, off, s[64:67], 0 offset:1048 ; 4-byte Folded Spill
	v_mul_f64 v[4:5], v[174:175], s[40:41]
	v_fma_f64 v[0:1], v[253:254], s[6:7], v[0:1]
	v_add_f64 v[0:1], v[164:165], v[0:1]
	v_fma_f64 v[2:3], v[196:197], s[20:21], v[2:3]
	v_add_f64 v[0:1], v[2:3], v[0:1]
	v_mul_f64 v[2:3], v[172:173], s[26:27]
	buffer_store_dword v2, off, s[64:67], 0 offset:1076 ; 4-byte Folded Spill
	s_nop 0
	buffer_store_dword v3, off, s[64:67], 0 offset:1080 ; 4-byte Folded Spill
	buffer_store_dword v4, off, s[64:67], 0 offset:1084 ; 4-byte Folded Spill
	s_nop 0
	buffer_store_dword v5, off, s[64:67], 0 offset:1088 ; 4-byte Folded Spill
	v_fma_f64 v[2:3], v[225:226], s[6:7], -v[2:3]
	v_fma_f64 v[4:5], v[198:199], s[20:21], -v[4:5]
	v_add_f64 v[2:3], v[166:167], v[2:3]
	v_add_f64 v[2:3], v[4:5], v[2:3]
	v_mul_f64 v[4:5], v[12:13], s[56:57]
	buffer_store_dword v4, off, s[64:67], 0 offset:1060 ; 4-byte Folded Spill
	s_nop 0
	buffer_store_dword v5, off, s[64:67], 0 offset:1064 ; 4-byte Folded Spill
	v_fma_f64 v[4:5], v[194:195], s[34:35], v[4:5]
	v_add_f64 v[0:1], v[4:5], v[0:1]
	v_mul_f64 v[4:5], v[8:9], s[56:57]
	buffer_store_dword v4, off, s[64:67], 0 offset:1100 ; 4-byte Folded Spill
	s_nop 0
	buffer_store_dword v5, off, s[64:67], 0 offset:1104 ; 4-byte Folded Spill
	v_fma_f64 v[4:5], v[229:230], s[34:35], -v[4:5]
	v_add_f64 v[2:3], v[4:5], v[2:3]
	v_mul_f64 v[4:5], v[36:37], s[50:51]
	buffer_store_dword v4, off, s[64:67], 0 offset:1052 ; 4-byte Folded Spill
	s_nop 0
	buffer_store_dword v5, off, s[64:67], 0 offset:1056 ; 4-byte Folded Spill
	v_fma_f64 v[4:5], v[202:203], s[18:19], v[4:5]
	v_add_f64 v[0:1], v[4:5], v[0:1]
	v_mul_f64 v[4:5], v[20:21], s[50:51]
	buffer_store_dword v4, off, s[64:67], 0 offset:1092 ; 4-byte Folded Spill
	s_nop 0
	buffer_store_dword v5, off, s[64:67], 0 offset:1096 ; 4-byte Folded Spill
	v_fma_f64 v[4:5], v[176:177], s[18:19], -v[4:5]
	;; [unrolled: 12-line block ×4, first 2 shown]
	v_add_f64 v[2:3], v[4:5], v[2:3]
	v_mul_f64 v[4:5], v[235:236], s[28:29]
	buffer_store_dword v4, off, s[64:67], 0 offset:980 ; 4-byte Folded Spill
	s_nop 0
	buffer_store_dword v5, off, s[64:67], 0 offset:984 ; 4-byte Folded Spill
	v_fma_f64 v[4:5], v[206:207], s[14:15], v[4:5]
	v_add_f64 v[0:1], v[4:5], v[0:1]
	v_fma_f64 v[4:5], v[208:209], s[14:15], -v[239:240]
	v_add_f64 v[2:3], v[4:5], v[2:3]
	v_mul_f64 v[4:5], v[60:61], s[42:43]
	buffer_store_dword v4, off, s[64:67], 0 offset:988 ; 4-byte Folded Spill
	s_nop 0
	buffer_store_dword v5, off, s[64:67], 0 offset:992 ; 4-byte Folded Spill
	v_fma_f64 v[4:5], v[220:221], s[22:23], v[4:5]
	v_add_f64 v[4:5], v[4:5], v[0:1]
	v_mul_f64 v[0:1], v[52:53], s[42:43]
	buffer_store_dword v0, off, s[64:67], 0 offset:1004 ; 4-byte Folded Spill
	s_nop 0
	buffer_store_dword v1, off, s[64:67], 0 offset:1008 ; 4-byte Folded Spill
	v_fma_f64 v[0:1], v[222:223], s[22:23], -v[0:1]
	v_add_f64 v[6:7], v[0:1], v[2:3]
	v_fma_f64 v[0:1], v[253:254], s[14:15], v[241:242]
	v_fma_f64 v[2:3], v[196:197], s[34:35], v[243:244]
	buffer_store_dword v4, off, s[64:67], 0 offset:32 ; 4-byte Folded Spill
	s_nop 0
	buffer_store_dword v5, off, s[64:67], 0 offset:36 ; 4-byte Folded Spill
	buffer_store_dword v6, off, s[64:67], 0 offset:40 ; 4-byte Folded Spill
	buffer_store_dword v7, off, s[64:67], 0 offset:44 ; 4-byte Folded Spill
	v_add_f64 v[0:1], v[164:165], v[0:1]
	v_fma_f64 v[4:5], v[198:199], s[34:35], -v[212:213]
	v_add_f64 v[0:1], v[2:3], v[0:1]
	v_fma_f64 v[2:3], v[225:226], s[14:15], -v[210:211]
	v_add_f64 v[2:3], v[166:167], v[2:3]
	v_add_f64 v[2:3], v[4:5], v[2:3]
	v_fma_f64 v[4:5], v[194:195], s[18:19], v[184:185]
	v_add_f64 v[0:1], v[4:5], v[0:1]
	v_fma_f64 v[4:5], v[229:230], s[18:19], -v[216:217]
	v_add_f64 v[2:3], v[4:5], v[2:3]
	v_fma_f64 v[4:5], v[202:203], s[2:3], v[182:183]
	v_add_f64 v[0:1], v[4:5], v[0:1]
	v_fma_f64 v[4:5], v[176:177], s[2:3], -v[214:215]
	;; [unrolled: 4-line block ×6, first 2 shown]
	v_add_f64 v[6:7], v[0:1], v[2:3]
	v_mul_f64 v[0:1], v[168:169], s[38:39]
	buffer_store_dword v4, off, s[64:67], 0 offset:48 ; 4-byte Folded Spill
	s_nop 0
	buffer_store_dword v5, off, s[64:67], 0 offset:52 ; 4-byte Folded Spill
	buffer_store_dword v6, off, s[64:67], 0 offset:56 ; 4-byte Folded Spill
	;; [unrolled: 1-line block ×3, first 2 shown]
	v_fma_f64 v[2:3], v[253:254], s[18:19], v[0:1]
	v_add_f64 v[4:5], v[164:165], v[2:3]
	v_mul_f64 v[2:3], v[170:171], s[52:53]
	v_fma_f64 v[6:7], v[196:197], s[22:23], v[2:3]
	v_add_f64 v[4:5], v[6:7], v[4:5]
	v_fma_f64 v[6:7], v[225:226], s[18:19], -v[54:55]
	v_add_f64 v[6:7], v[166:167], v[6:7]
	v_add_f64 v[6:7], v[40:41], v[6:7]
	v_fma_f64 v[40:41], v[194:195], s[16:17], v[42:43]
	v_add_f64 v[4:5], v[40:41], v[4:5]
	v_fma_f64 v[40:41], v[229:230], s[16:17], -v[62:63]
	v_add_f64 v[6:7], v[40:41], v[6:7]
	v_mul_f64 v[40:41], v[36:37], s[26:27]
	v_fma_f64 v[44:45], v[202:203], s[6:7], v[40:41]
	v_add_f64 v[4:5], v[44:45], v[4:5]
	v_fma_f64 v[44:45], v[176:177], s[6:7], -v[58:59]
	v_add_f64 v[6:7], v[44:45], v[6:7]
	v_mul_f64 v[44:45], v[245:246], s[44:45]
	;; [unrolled: 5-line block ×5, first 2 shown]
	v_fma_f64 v[70:71], v[220:221], s[20:21], v[50:51]
	v_add_f64 v[14:15], v[70:71], v[4:5]
	v_mul_f64 v[70:71], v[52:53], s[40:41]
	v_fma_f64 v[4:5], v[222:223], s[20:21], -v[70:71]
	v_add_f64 v[16:17], v[4:5], v[6:7]
	v_fma_f64 v[4:5], v[253:254], s[20:21], v[72:73]
	v_fma_f64 v[6:7], v[196:197], s[18:19], v[74:75]
	buffer_store_dword v14, off, s[64:67], 0 offset:64 ; 4-byte Folded Spill
	s_nop 0
	buffer_store_dword v15, off, s[64:67], 0 offset:68 ; 4-byte Folded Spill
	buffer_store_dword v16, off, s[64:67], 0 offset:72 ; 4-byte Folded Spill
	;; [unrolled: 1-line block ×3, first 2 shown]
	v_add_f64 v[4:5], v[164:165], v[4:5]
	v_add_f64 v[4:5], v[6:7], v[4:5]
	v_fma_f64 v[6:7], v[225:226], s[20:21], -v[88:89]
	v_add_f64 v[6:7], v[166:167], v[6:7]
	v_add_f64 v[6:7], v[76:77], v[6:7]
	v_fma_f64 v[76:77], v[194:195], s[2:3], v[78:79]
	v_add_f64 v[4:5], v[76:77], v[4:5]
	v_fma_f64 v[76:77], v[229:230], s[2:3], -v[94:95]
	v_add_f64 v[6:7], v[76:77], v[6:7]
	v_mul_f64 v[76:77], v[36:37], s[42:43]
	v_fma_f64 v[80:81], v[202:203], s[22:23], v[76:77]
	v_add_f64 v[4:5], v[80:81], v[4:5]
	v_fma_f64 v[80:81], v[176:177], s[22:23], -v[92:93]
	v_add_f64 v[6:7], v[80:81], v[6:7]
	v_mul_f64 v[80:81], v[245:246], s[60:61]
	v_fma_f64 v[82:83], v[200:201], s[14:15], v[80:81]
	v_add_f64 v[4:5], v[82:83], v[4:5]
	v_fma_f64 v[82:83], v[180:181], s[14:15], -v[96:97]
	v_add_f64 v[6:7], v[82:83], v[6:7]
	v_mul_f64 v[82:83], v[192:193], s[24:25]
	v_fma_f64 v[84:85], v[186:187], s[16:17], v[82:83]
	v_add_f64 v[4:5], v[84:85], v[4:5]
	v_fma_f64 v[84:85], v[188:189], s[16:17], -v[98:99]
	v_add_f64 v[6:7], v[84:85], v[6:7]
	v_mul_f64 v[84:85], v[235:236], s[44:45]
	v_fma_f64 v[86:87], v[206:207], s[34:35], v[84:85]
	v_add_f64 v[4:5], v[86:87], v[4:5]
	v_fma_f64 v[86:87], v[208:209], s[34:35], -v[100:101]
	v_add_f64 v[6:7], v[86:87], v[6:7]
	v_mul_f64 v[86:87], v[60:61], s[46:47]
	v_fma_f64 v[102:103], v[220:221], s[6:7], v[86:87]
	v_add_f64 v[14:15], v[102:103], v[4:5]
	v_mul_f64 v[102:103], v[52:53], s[46:47]
	v_fma_f64 v[4:5], v[222:223], s[6:7], -v[102:103]
	v_add_f64 v[16:17], v[4:5], v[6:7]
	v_fma_f64 v[4:5], v[253:254], s[22:23], v[136:137]
	v_fma_f64 v[6:7], v[196:197], s[6:7], v[138:139]
	buffer_store_dword v14, off, s[64:67], 0 offset:80 ; 4-byte Folded Spill
	s_nop 0
	buffer_store_dword v15, off, s[64:67], 0 offset:84 ; 4-byte Folded Spill
	buffer_store_dword v16, off, s[64:67], 0 offset:88 ; 4-byte Folded Spill
	;; [unrolled: 1-line block ×3, first 2 shown]
	v_add_f64 v[4:5], v[164:165], v[4:5]
	v_add_f64 v[4:5], v[6:7], v[4:5]
	v_fma_f64 v[6:7], v[225:226], s[22:23], -v[148:149]
	v_add_f64 v[6:7], v[166:167], v[6:7]
	v_add_f64 v[6:7], v[140:141], v[6:7]
	v_fma_f64 v[140:141], v[194:195], s[14:15], v[142:143]
	v_add_f64 v[4:5], v[140:141], v[4:5]
	v_fma_f64 v[140:141], v[229:230], s[14:15], -v[152:153]
	v_add_f64 v[144:145], v[140:141], v[6:7]
	v_mul_f64 v[140:141], v[36:37], s[58:59]
	v_fma_f64 v[6:7], v[202:203], s[20:21], v[140:141]
	v_add_f64 v[4:5], v[6:7], v[4:5]
	v_mul_f64 v[6:7], v[20:21], s[58:59]
	v_fma_f64 v[146:147], v[176:177], s[20:21], -v[6:7]
	v_add_f64 v[144:145], v[146:147], v[144:145]
	v_fma_f64 v[146:147], v[200:201], s[2:3], v[237:238]
	v_add_f64 v[4:5], v[146:147], v[4:5]
	v_fma_f64 v[146:147], v[180:181], s[2:3], -v[154:155]
	v_add_f64 v[146:147], v[146:147], v[144:145]
	v_mul_f64 v[144:145], v[192:193], s[44:45]
	v_fma_f64 v[156:157], v[186:187], s[34:35], v[144:145]
	v_add_f64 v[4:5], v[156:157], v[4:5]
	v_mul_f64 v[156:157], v[204:205], s[44:45]
	v_fma_f64 v[158:159], v[188:189], s[34:35], -v[156:157]
	v_add_f64 v[160:161], v[158:159], v[146:147]
	v_mul_f64 v[146:147], v[235:236], s[54:55]
	v_fma_f64 v[158:159], v[206:207], s[16:17], v[146:147]
	v_add_f64 v[162:163], v[158:159], v[4:5]
	v_mul_f64 v[158:159], v[178:179], s[54:55]
	;; [unrolled: 6-line block ×3, first 2 shown]
	v_fma_f64 v[162:163], v[222:223], s[18:19], -v[160:161]
	v_add_f64 v[18:19], v[162:163], v[14:15]
	buffer_store_dword v16, off, s[64:67], 0 offset:96 ; 4-byte Folded Spill
	s_nop 0
	buffer_store_dword v17, off, s[64:67], 0 offset:100 ; 4-byte Folded Spill
	buffer_store_dword v18, off, s[64:67], 0 offset:104 ; 4-byte Folded Spill
	;; [unrolled: 1-line block ×3, first 2 shown]
	s_and_saveexec_b64 s[36:37], s[0:1]
	s_cbranch_execz .LBB0_5
; %bb.4:
	v_mul_f64 v[14:15], v[225:226], s[34:35]
	v_mul_f64 v[16:17], v[198:199], s[2:3]
	buffer_store_dword v22, off, s[64:67], 0 offset:1124 ; 4-byte Folded Spill
	s_nop 0
	buffer_store_dword v23, off, s[64:67], 0 offset:1128 ; 4-byte Folded Spill
	v_mul_f64 v[22:23], v[170:171], s[48:49]
	buffer_store_dword v24, off, s[64:67], 0 offset:1132 ; 4-byte Folded Spill
	s_nop 0
	buffer_store_dword v25, off, s[64:67], 0 offset:1136 ; 4-byte Folded Spill
	v_mul_f64 v[24:25], v[229:230], s[22:23]
	v_mul_f64 v[11:12], v[12:13], s[42:43]
	buffer_store_dword v26, off, s[64:67], 0 offset:1140 ; 4-byte Folded Spill
	s_nop 0
	buffer_store_dword v27, off, s[64:67], 0 offset:1144 ; 4-byte Folded Spill
	v_fma_f64 v[162:163], v[172:173], s[56:57], v[14:15]
	v_fma_f64 v[18:19], v[174:175], s[30:31], v[16:17]
	v_mul_f64 v[26:27], v[176:177], s[16:17]
	v_fma_f64 v[170:171], v[196:197], s[2:3], v[22:23]
	v_mul_f64 v[36:37], v[36:37], s[54:55]
	buffer_store_dword v28, off, s[64:67], 0 offset:1148 ; 4-byte Folded Spill
	s_nop 0
	buffer_store_dword v29, off, s[64:67], 0 offset:1152 ; 4-byte Folded Spill
	v_mul_f64 v[28:29], v[180:181], s[20:21]
	v_mul_f64 v[245:246], v[245:246], s[40:41]
	v_add_f64 v[162:163], v[166:167], v[162:163]
	buffer_store_dword v30, off, s[64:67], 0 offset:1172 ; 4-byte Folded Spill
	s_nop 0
	buffer_store_dword v31, off, s[64:67], 0 offset:1176 ; 4-byte Folded Spill
	v_mul_f64 v[30:31], v[188:189], s[6:7]
	v_mul_f64 v[192:193], v[192:193], s[46:47]
	buffer_store_dword v32, off, s[64:67], 0 offset:1164 ; 4-byte Folded Spill
	s_nop 0
	buffer_store_dword v33, off, s[64:67], 0 offset:1168 ; 4-byte Folded Spill
	v_mul_f64 v[32:33], v[208:209], s[18:19]
	v_mul_f64 v[235:236], v[235:236], s[38:39]
	v_fma_f64 v[13:14], v[172:173], s[44:45], v[14:15]
	v_add_f64 v[18:19], v[18:19], v[162:163]
	v_mul_f64 v[162:163], v[168:169], s[44:45]
	buffer_store_dword v34, off, s[64:67], 0 offset:1156 ; 4-byte Folded Spill
	s_nop 0
	buffer_store_dword v35, off, s[64:67], 0 offset:1160 ; 4-byte Folded Spill
	v_mul_f64 v[34:35], v[222:223], s[14:15]
	v_fma_f64 v[15:16], v[174:175], s[48:49], v[16:17]
	v_mul_f64 v[60:61], v[60:61], s[60:61]
	v_add_f64 v[13:14], v[166:167], v[13:14]
	v_fma_f64 v[168:169], v[253:254], s[34:35], v[162:163]
	v_add_f64 v[13:14], v[15:16], v[13:14]
	v_fma_f64 v[15:16], v[52:53], s[60:61], v[34:35]
	v_add_f64 v[168:169], v[164:165], v[168:169]
	v_add_f64 v[168:169], v[170:171], v[168:169]
	v_fma_f64 v[170:171], v[8:9], s[52:53], v[24:25]
	v_fma_f64 v[8:9], v[8:9], s[42:43], v[24:25]
	;; [unrolled: 1-line block ×3, first 2 shown]
	v_add_f64 v[18:19], v[170:171], v[18:19]
	v_fma_f64 v[170:171], v[194:195], s[22:23], v[11:12]
	v_add_f64 v[8:9], v[8:9], v[13:14]
	v_fma_f64 v[13:14], v[253:254], s[34:35], -v[162:163]
	v_fma_f64 v[11:12], v[194:195], s[22:23], -v[11:12]
	v_add_f64 v[168:169], v[170:171], v[168:169]
	v_fma_f64 v[170:171], v[20:21], s[24:25], v[26:27]
	v_add_f64 v[13:14], v[164:165], v[13:14]
	v_add_f64 v[18:19], v[170:171], v[18:19]
	v_fma_f64 v[170:171], v[202:203], s[16:17], v[36:37]
	v_add_f64 v[168:169], v[170:171], v[168:169]
	v_fma_f64 v[170:171], v[38:39], s[58:59], v[28:29]
	v_fma_f64 v[28:29], v[38:39], s[40:41], v[28:29]
	v_add_f64 v[18:19], v[170:171], v[18:19]
	v_fma_f64 v[170:171], v[200:201], s[20:21], v[245:246]
	v_add_f64 v[168:169], v[170:171], v[168:169]
	;; [unrolled: 2-line block ×8, first 2 shown]
	v_fma_f64 v[19:20], v[20:21], s[54:55], v[26:27]
	v_fma_f64 v[21:22], v[196:197], s[2:3], -v[22:23]
	v_fma_f64 v[17:18], v[178:179], s[38:39], v[32:33]
	v_mul_f64 v[26:27], v[253:254], s[14:15]
	v_add_f64 v[8:9], v[19:20], v[8:9]
	v_add_f64 v[13:14], v[21:22], v[13:14]
	v_mul_f64 v[20:21], v[253:254], s[20:21]
	v_mul_f64 v[22:23], v[196:197], s[18:19]
	v_add_f64 v[26:27], v[26:27], -v[241:242]
	v_add_f64 v[8:9], v[28:29], v[8:9]
	v_add_f64 v[11:12], v[11:12], v[13:14]
	v_fma_f64 v[13:14], v[202:203], s[16:17], -v[36:37]
	v_add_f64 v[20:21], v[20:21], -v[72:73]
	v_add_f64 v[22:23], v[22:23], -v[74:75]
	v_mul_f64 v[28:29], v[196:197], s[34:35]
	v_add_f64 v[26:27], v[164:165], v[26:27]
	v_mul_f64 v[74:75], v[176:177], s[14:15]
	v_add_f64 v[8:9], v[24:25], v[8:9]
	;; [unrolled: 2-line block ×3, first 2 shown]
	v_fma_f64 v[13:14], v[200:201], s[20:21], -v[245:246]
	v_add_f64 v[20:21], v[164:165], v[20:21]
	v_add_f64 v[28:29], v[28:29], -v[243:244]
	v_add_f64 v[8:9], v[17:18], v[8:9]
	v_mul_f64 v[18:19], v[198:199], s[18:19]
	v_add_f64 v[0:1], v[24:25], -v[0:1]
	v_add_f64 v[11:12], v[13:14], v[11:12]
	v_fma_f64 v[13:14], v[186:187], s[6:7], -v[192:193]
	v_add_f64 v[20:21], v[22:23], v[20:21]
	v_mul_f64 v[22:23], v[202:203], s[22:23]
	v_mul_f64 v[24:25], v[196:197], s[22:23]
	v_add_f64 v[174:175], v[15:16], v[8:9]
	v_mul_f64 v[8:9], v[229:230], s[14:15]
	v_mul_f64 v[16:17], v[196:197], s[6:7]
	v_add_f64 v[18:19], v[90:91], v[18:19]
	v_add_f64 v[11:12], v[13:14], v[11:12]
	v_fma_f64 v[13:14], v[206:207], s[18:19], -v[235:236]
	v_add_f64 v[22:23], v[22:23], -v[76:77]
	v_add_f64 v[2:3], v[24:25], -v[2:3]
	v_add_f64 v[0:1], v[164:165], v[0:1]
	v_add_f64 v[8:9], v[152:153], v[8:9]
	v_add_f64 v[16:17], v[16:17], -v[138:139]
	v_mul_f64 v[24:25], v[198:199], s[34:35]
	v_add_f64 v[26:27], v[28:29], v[26:27]
	v_add_f64 v[11:12], v[13:14], v[11:12]
	v_fma_f64 v[13:14], v[220:221], s[14:15], -v[60:61]
	v_mul_f64 v[28:29], v[202:203], s[2:3]
	v_add_f64 v[0:1], v[2:3], v[0:1]
	v_mul_f64 v[2:3], v[202:203], s[6:7]
	v_mul_f64 v[90:91], v[186:187], s[2:3]
	v_add_f64 v[24:25], v[212:213], v[24:25]
	v_mul_f64 v[76:77], v[202:203], s[34:35]
	v_mul_f64 v[138:139], v[222:223], s[22:23]
	v_add_f64 v[172:173], v[13:14], v[11:12]
	v_mul_f64 v[11:12], v[225:226], s[22:23]
	v_mul_f64 v[13:14], v[198:199], s[6:7]
	v_add_f64 v[2:3], v[2:3], -v[40:41]
	v_add_f64 v[28:29], v[28:29], -v[182:183]
	v_add_f64 v[11:12], v[148:149], v[11:12]
	v_add_f64 v[13:14], v[150:151], v[13:14]
	;; [unrolled: 1-line block ×4, first 2 shown]
	v_mul_f64 v[13:14], v[176:177], s[20:21]
	v_add_f64 v[8:9], v[8:9], v[11:12]
	v_add_f64 v[6:7], v[6:7], v[13:14]
	v_mul_f64 v[11:12], v[180:181], s[2:3]
	v_add_f64 v[6:7], v[6:7], v[8:9]
	v_add_f64 v[11:12], v[154:155], v[11:12]
	;; [unrolled: 3-line block ×4, first 2 shown]
	v_mul_f64 v[8:9], v[222:223], s[18:19]
	v_add_f64 v[6:7], v[11:12], v[6:7]
	v_mul_f64 v[11:12], v[253:254], s[22:23]
	v_add_f64 v[14:15], v[160:161], v[8:9]
	v_mul_f64 v[8:9], v[194:195], s[14:15]
	v_add_f64 v[11:12], v[11:12], -v[136:137]
	v_mul_f64 v[136:137], v[220:221], s[2:3]
	v_add_f64 v[8:9], v[8:9], -v[142:143]
	v_mul_f64 v[142:143], v[220:221], s[22:23]
	v_add_f64 v[11:12], v[164:165], v[11:12]
	v_add_f64 v[11:12], v[16:17], v[11:12]
	v_mul_f64 v[16:17], v[202:203], s[20:21]
	v_add_f64 v[8:9], v[8:9], v[11:12]
	v_add_f64 v[16:17], v[16:17], -v[140:141]
	v_mul_f64 v[11:12], v[200:201], s[2:3]
	v_mul_f64 v[140:141], v[222:223], s[2:3]
	v_add_f64 v[8:9], v[16:17], v[8:9]
	v_add_f64 v[11:12], v[11:12], -v[237:238]
	v_mul_f64 v[16:17], v[186:187], s[34:35]
	v_add_f64 v[8:9], v[11:12], v[8:9]
	v_add_f64 v[16:17], v[16:17], -v[144:145]
	;; [unrolled: 3-line block ×3, first 2 shown]
	v_mul_f64 v[8:9], v[220:221], s[18:19]
	v_add_f64 v[12:13], v[11:12], v[16:17]
	v_mul_f64 v[16:17], v[225:226], s[20:21]
	v_add_f64 v[8:9], v[8:9], -v[4:5]
	v_mul_f64 v[4:5], v[229:230], s[2:3]
	v_add_f64 v[16:17], v[88:89], v[16:17]
	v_mul_f64 v[88:89], v[188:189], s[18:19]
	v_add_f64 v[4:5], v[94:95], v[4:5]
	v_add_f64 v[16:17], v[166:167], v[16:17]
	;; [unrolled: 1-line block ×3, first 2 shown]
	v_mul_f64 v[18:19], v[176:177], s[22:23]
	v_add_f64 v[4:5], v[4:5], v[16:17]
	v_add_f64 v[18:19], v[92:93], v[18:19]
	v_mul_f64 v[16:17], v[180:181], s[14:15]
	v_add_f64 v[4:5], v[18:19], v[4:5]
	v_add_f64 v[16:17], v[96:97], v[16:17]
	v_mul_f64 v[18:19], v[188:189], s[16:17]
	v_mul_f64 v[96:97], v[208:209], s[6:7]
	v_add_f64 v[4:5], v[16:17], v[4:5]
	v_add_f64 v[18:19], v[98:99], v[18:19]
	v_mul_f64 v[16:17], v[208:209], s[34:35]
	;; [unrolled: 4-line block ×3, first 2 shown]
	v_add_f64 v[4:5], v[16:17], v[4:5]
	v_mul_f64 v[16:17], v[194:195], s[2:3]
	v_add_f64 v[18:19], v[102:103], v[18:19]
	v_mul_f64 v[102:103], v[222:223], s[34:35]
	v_add_f64 v[16:17], v[16:17], -v[78:79]
	v_add_f64 v[16:17], v[16:17], v[20:21]
	v_mul_f64 v[20:21], v[200:201], s[14:15]
	v_add_f64 v[16:17], v[22:23], v[16:17]
	v_add_f64 v[20:21], v[20:21], -v[80:81]
	v_mul_f64 v[22:23], v[186:187], s[16:17]
	v_mul_f64 v[80:81], v[180:181], s[18:19]
	v_add_f64 v[16:17], v[20:21], v[16:17]
	v_add_f64 v[22:23], v[22:23], -v[82:83]
	v_mul_f64 v[20:21], v[206:207], s[34:35]
	;; [unrolled: 4-line block ×3, first 2 shown]
	v_add_f64 v[52:53], v[20:21], v[16:17]
	v_mul_f64 v[20:21], v[225:226], s[18:19]
	v_add_f64 v[38:39], v[22:23], -v[86:87]
	v_mul_f64 v[22:23], v[198:199], s[22:23]
	v_mul_f64 v[16:17], v[229:230], s[16:17]
	v_add_f64 v[20:21], v[54:55], v[20:21]
	v_add_f64 v[22:23], v[56:57], v[22:23]
	;; [unrolled: 1-line block ×3, first 2 shown]
	v_mul_f64 v[56:57], v[225:226], s[2:3]
	v_mul_f64 v[62:63], v[198:199], s[16:17]
	v_add_f64 v[20:21], v[166:167], v[20:21]
	v_add_f64 v[20:21], v[22:23], v[20:21]
	v_mul_f64 v[22:23], v[176:177], s[6:7]
	v_add_f64 v[16:17], v[16:17], v[20:21]
	v_add_f64 v[22:23], v[58:59], v[22:23]
	v_mul_f64 v[20:21], v[180:181], s[34:35]
	v_mul_f64 v[58:59], v[253:254], s[16:17]
	v_add_f64 v[16:17], v[22:23], v[16:17]
	v_add_f64 v[20:21], v[64:65], v[20:21]
	v_mul_f64 v[22:23], v[188:189], s[14:15]
	;; [unrolled: 4-line block ×4, first 2 shown]
	v_mul_f64 v[68:69], v[229:230], s[6:7]
	v_add_f64 v[16:17], v[20:21], v[16:17]
	v_mul_f64 v[20:21], v[194:195], s[16:17]
	v_add_f64 v[22:23], v[70:71], v[22:23]
	v_mul_f64 v[70:71], v[194:195], s[20:21]
	v_add_f64 v[20:21], v[20:21], -v[42:43]
	v_add_f64 v[16:17], v[22:23], v[16:17]
	v_add_f64 v[0:1], v[20:21], v[0:1]
	v_mul_f64 v[20:21], v[200:201], s[34:35]
	v_add_f64 v[0:1], v[2:3], v[0:1]
	v_add_f64 v[20:21], v[20:21], -v[44:45]
	v_mul_f64 v[2:3], v[186:187], s[14:15]
	v_add_f64 v[0:1], v[20:21], v[0:1]
	v_add_f64 v[2:3], v[2:3], -v[46:47]
	;; [unrolled: 3-line block ×3, first 2 shown]
	v_mul_f64 v[2:3], v[220:221], s[20:21]
	v_add_f64 v[0:1], v[20:21], v[0:1]
	v_mul_f64 v[20:21], v[225:226], s[14:15]
	v_add_f64 v[40:41], v[2:3], -v[50:51]
	v_mul_f64 v[2:3], v[229:230], s[18:19]
	v_add_f64 v[20:21], v[210:211], v[20:21]
	v_add_f64 v[2:3], v[216:217], v[2:3]
	v_add_f64 v[20:21], v[166:167], v[20:21]
	v_add_f64 v[20:21], v[24:25], v[20:21]
	v_mul_f64 v[24:25], v[176:177], s[2:3]
	v_add_f64 v[2:3], v[2:3], v[20:21]
	v_add_f64 v[24:25], v[214:215], v[24:25]
	v_mul_f64 v[20:21], v[180:181], s[6:7]
	v_add_f64 v[2:3], v[24:25], v[2:3]
	v_add_f64 v[20:21], v[218:219], v[20:21]
	;; [unrolled: 3-line block ×4, first 2 shown]
	v_mul_f64 v[24:25], v[222:223], s[16:17]
	v_add_f64 v[20:21], v[20:21], v[2:3]
	v_mul_f64 v[2:3], v[194:195], s[18:19]
	v_add_f64 v[24:25], v[233:234], v[24:25]
	v_add_f64 v[2:3], v[2:3], -v[184:185]
	v_add_f64 v[20:21], v[24:25], v[20:21]
	v_add_f64 v[2:3], v[2:3], v[26:27]
	v_mul_f64 v[26:27], v[200:201], s[6:7]
	v_add_f64 v[2:3], v[28:29], v[2:3]
	v_add_f64 v[26:27], v[26:27], -v[247:248]
	v_mul_f64 v[28:29], v[186:187], s[22:23]
	v_add_f64 v[2:3], v[26:27], v[2:3]
	v_add_f64 v[28:29], v[28:29], -v[249:250]
	v_mul_f64 v[26:27], v[206:207], s[20:21]
	v_add_f64 v[2:3], v[28:29], v[2:3]
	v_add_f64 v[26:27], v[26:27], -v[251:252]
	v_mul_f64 v[28:29], v[220:221], s[16:17]
	v_add_f64 v[44:45], v[26:27], v[2:3]
	buffer_load_dword v26, off, s[64:67], 0 offset:1100 ; 4-byte Folded Reload
	buffer_load_dword v27, off, s[64:67], 0 offset:1104 ; 4-byte Folded Reload
	v_add_f64 v[42:43], v[28:29], -v[190:191]
	buffer_load_dword v28, off, s[64:67], 0 offset:1076 ; 4-byte Folded Reload
	buffer_load_dword v29, off, s[64:67], 0 offset:1080 ; 4-byte Folded Reload
	;; [unrolled: 1-line block ×4, first 2 shown]
	v_mul_f64 v[2:3], v[229:230], s[34:35]
	s_waitcnt vmcnt(4)
	v_add_f64 v[2:3], v[26:27], v[2:3]
	v_mul_f64 v[26:27], v[225:226], s[6:7]
	s_waitcnt vmcnt(2)
	v_add_f64 v[26:27], v[28:29], v[26:27]
	v_mul_f64 v[28:29], v[198:199], s[20:21]
	v_add_f64 v[26:27], v[166:167], v[26:27]
	s_waitcnt vmcnt(0)
	v_add_f64 v[28:29], v[30:31], v[28:29]
	buffer_load_dword v30, off, s[64:67], 0 offset:1092 ; 4-byte Folded Reload
	buffer_load_dword v31, off, s[64:67], 0 offset:1096 ; 4-byte Folded Reload
	v_add_f64 v[26:27], v[28:29], v[26:27]
	v_mul_f64 v[28:29], v[176:177], s[18:19]
	v_add_f64 v[2:3], v[2:3], v[26:27]
	v_mul_f64 v[26:27], v[180:181], s[16:17]
	s_waitcnt vmcnt(0)
	v_add_f64 v[28:29], v[30:31], v[28:29]
	buffer_load_dword v30, off, s[64:67], 0 offset:1108 ; 4-byte Folded Reload
	buffer_load_dword v31, off, s[64:67], 0 offset:1112 ; 4-byte Folded Reload
	v_add_f64 v[2:3], v[28:29], v[2:3]
	v_mul_f64 v[28:29], v[188:189], s[2:3]
	s_waitcnt vmcnt(0)
	v_add_f64 v[26:27], v[30:31], v[26:27]
	buffer_load_dword v30, off, s[64:67], 0 offset:1116 ; 4-byte Folded Reload
	buffer_load_dword v31, off, s[64:67], 0 offset:1120 ; 4-byte Folded Reload
	v_add_f64 v[2:3], v[26:27], v[2:3]
	v_mul_f64 v[26:27], v[208:209], s[14:15]
	v_add_f64 v[26:27], v[239:240], v[26:27]
	s_waitcnt vmcnt(0)
	v_add_f64 v[28:29], v[30:31], v[28:29]
	buffer_load_dword v30, off, s[64:67], 0 offset:1060 ; 4-byte Folded Reload
	buffer_load_dword v31, off, s[64:67], 0 offset:1064 ; 4-byte Folded Reload
	;; [unrolled: 1-line block ×6, first 2 shown]
	v_add_f64 v[28:29], v[28:29], v[2:3]
	v_mul_f64 v[2:3], v[194:195], s[34:35]
	v_add_f64 v[24:25], v[26:27], v[28:29]
	s_waitcnt vmcnt(4)
	v_add_f64 v[2:3], v[2:3], -v[30:31]
	v_mul_f64 v[30:31], v[253:254], s[6:7]
	s_waitcnt vmcnt(2)
	v_add_f64 v[30:31], v[30:31], -v[32:33]
	v_mul_f64 v[32:33], v[196:197], s[20:21]
	v_add_f64 v[30:31], v[164:165], v[30:31]
	s_waitcnt vmcnt(0)
	v_add_f64 v[32:33], v[32:33], -v[34:35]
	buffer_load_dword v34, off, s[64:67], 0 offset:1052 ; 4-byte Folded Reload
	buffer_load_dword v35, off, s[64:67], 0 offset:1056 ; 4-byte Folded Reload
	v_add_f64 v[30:31], v[32:33], v[30:31]
	v_mul_f64 v[32:33], v[202:203], s[18:19]
	v_add_f64 v[2:3], v[2:3], v[30:31]
	v_mul_f64 v[30:31], v[200:201], s[16:17]
	s_waitcnt vmcnt(0)
	v_add_f64 v[32:33], v[32:33], -v[34:35]
	buffer_load_dword v34, off, s[64:67], 0 offset:1068 ; 4-byte Folded Reload
	buffer_load_dword v35, off, s[64:67], 0 offset:1072 ; 4-byte Folded Reload
	v_add_f64 v[32:33], v[32:33], v[2:3]
	v_mul_f64 v[2:3], v[180:181], s[22:23]
	s_waitcnt vmcnt(0)
	v_add_f64 v[30:31], v[30:31], -v[34:35]
	buffer_load_dword v34, off, s[64:67], 0 offset:1028 ; 4-byte Folded Reload
	buffer_load_dword v35, off, s[64:67], 0 offset:1032 ; 4-byte Folded Reload
	;; [unrolled: 1-line block ×14, first 2 shown]
	v_add_f64 v[22:23], v[30:31], v[32:33]
	s_waitcnt vmcnt(12)
	v_add_f64 v[2:3], v[34:35], v[2:3]
	v_mul_f64 v[34:35], v[176:177], s[34:35]
	s_waitcnt vmcnt(4)
	v_add_f64 v[50:51], v[166:167], v[50:51]
	v_add_f64 v[34:35], v[36:37], v[34:35]
	v_mul_f64 v[36:37], v[229:230], s[20:21]
	s_waitcnt vmcnt(0)
	v_add_f64 v[50:51], v[50:51], v[60:61]
	v_mul_f64 v[60:61], v[196:197], s[16:17]
	v_add_f64 v[36:37], v[46:47], v[36:37]
	v_mul_f64 v[46:47], v[225:226], s[16:17]
	;; [unrolled: 2-line block ×3, first 2 shown]
	v_add_f64 v[46:47], v[166:167], v[46:47]
	v_add_f64 v[48:49], v[54:55], v[48:49]
	v_mul_f64 v[54:55], v[253:254], s[2:3]
	v_add_f64 v[46:47], v[48:49], v[46:47]
	buffer_load_dword v48, off, s[64:67], 0 offset:748 ; 4-byte Folded Reload
	buffer_load_dword v49, off, s[64:67], 0 offset:752 ; 4-byte Folded Reload
	;; [unrolled: 1-line block ×14, first 2 shown]
	v_add_f64 v[36:37], v[36:37], v[46:47]
	buffer_load_dword v100, off, s[64:67], 0 offset:972 ; 4-byte Folded Reload
	buffer_load_dword v101, off, s[64:67], 0 offset:976 ; 4-byte Folded Reload
	v_mul_f64 v[46:47], v[186:187], s[20:21]
	v_add_f64 v[34:35], v[34:35], v[36:37]
	v_mul_f64 v[36:37], v[206:207], s[22:23]
	v_add_f64 v[34:35], v[2:3], v[34:35]
	buffer_load_dword v2, off, s[64:67], 0 offset:692 ; 4-byte Folded Reload
	buffer_load_dword v3, off, s[64:67], 0 offset:696 ; 4-byte Folded Reload
	s_waitcnt vmcnt(16)
	v_add_f64 v[48:49], v[164:165], v[48:49]
	s_waitcnt vmcnt(14)
	v_add_f64 v[50:51], v[50:51], v[72:73]
	v_mul_f64 v[72:73], v[202:203], s[14:15]
	s_waitcnt vmcnt(12)
	v_add_f64 v[48:49], v[48:49], v[78:79]
	s_waitcnt vmcnt(10)
	v_add_f64 v[50:51], v[50:51], v[84:85]
	;; [unrolled: 2-line block ×3, first 2 shown]
	v_mul_f64 v[78:79], v[200:201], s[18:19]
	v_mul_f64 v[84:85], v[188:189], s[20:21]
	;; [unrolled: 1-line block ×3, first 2 shown]
	v_add_f64 v[48:49], v[48:49], v[86:87]
	v_add_f64 v[50:51], v[50:51], v[92:93]
	;; [unrolled: 1-line block ×3, first 2 shown]
	v_mul_f64 v[86:87], v[186:187], s[18:19]
	v_mul_f64 v[92:93], v[208:209], s[22:23]
	v_add_f64 v[48:49], v[48:49], v[94:95]
	s_waitcnt vmcnt(0)
	v_add_f64 v[50:51], v[50:51], v[2:3]
	buffer_load_dword v2, off, s[64:67], 0 offset:684 ; 4-byte Folded Reload
	buffer_load_dword v3, off, s[64:67], 0 offset:688 ; 4-byte Folded Reload
	v_mul_f64 v[94:95], v[206:207], s[6:7]
	s_waitcnt vmcnt(0)
	v_add_f64 v[48:49], v[48:49], v[2:3]
	v_add_f64 v[2:3], v[14:15], v[6:7]
	;; [unrolled: 1-line block ×3, first 2 shown]
	buffer_load_dword v4, off, s[64:67], 0 offset:676 ; 4-byte Folded Reload
	buffer_load_dword v5, off, s[64:67], 0 offset:680 ; 4-byte Folded Reload
	;; [unrolled: 1-line block ×12, first 2 shown]
	s_waitcnt vmcnt(10)
	v_add_f64 v[4:5], v[48:49], v[4:5]
	s_waitcnt vmcnt(8)
	v_add_f64 v[14:15], v[14:15], v[138:139]
	s_waitcnt vmcnt(6)
	v_add_f64 v[18:19], v[90:91], -v[18:19]
	s_waitcnt vmcnt(4)
	v_add_f64 v[26:27], v[26:27], v[96:97]
	s_waitcnt vmcnt(2)
	v_add_f64 v[30:31], v[50:51], v[30:31]
	;; [unrolled: 2-line block ×3, first 2 shown]
	buffer_load_dword v32, off, s[64:67], 0 offset:988 ; 4-byte Folded Reload
	buffer_load_dword v33, off, s[64:67], 0 offset:992 ; 4-byte Folded Reload
	v_add_f64 v[18:19], v[18:19], v[22:23]
	v_add_f64 v[26:27], v[26:27], v[28:29]
	;; [unrolled: 1-line block ×3, first 2 shown]
	s_waitcnt vmcnt(0)
	v_add_f64 v[48:49], v[142:143], -v[32:33]
	buffer_load_dword v32, off, s[64:67], 0 offset:980 ; 4-byte Folded Reload
	buffer_load_dword v33, off, s[64:67], 0 offset:984 ; 4-byte Folded Reload
	;; [unrolled: 1-line block ×8, first 2 shown]
	s_waitcnt vmcnt(6)
	v_add_f64 v[32:33], v[98:99], -v[32:33]
	s_waitcnt vmcnt(4)
	v_add_f64 v[22:23], v[22:23], v[140:141]
	s_waitcnt vmcnt(2)
	v_add_f64 v[34:35], v[34:35], v[56:57]
	;; [unrolled: 2-line block ×3, first 2 shown]
	buffer_load_dword v30, off, s[64:67], 0 offset:620 ; 4-byte Folded Reload
	buffer_load_dword v31, off, s[64:67], 0 offset:624 ; 4-byte Folded Reload
	v_add_f64 v[18:19], v[32:33], v[18:19]
	v_add_f64 v[34:35], v[166:167], v[34:35]
	s_waitcnt vmcnt(0)
	v_add_f64 v[4:5], v[4:5], v[30:31]
	buffer_load_dword v30, off, s[64:67], 0 offset:652 ; 4-byte Folded Reload
	buffer_load_dword v31, off, s[64:67], 0 offset:656 ; 4-byte Folded Reload
	;; [unrolled: 1-line block ×4, first 2 shown]
	s_waitcnt vmcnt(2)
	v_add_f64 v[30:31], v[54:55], -v[30:31]
	s_waitcnt vmcnt(0)
	v_add_f64 v[50:51], v[58:59], -v[50:51]
	buffer_load_dword v54, off, s[64:67], 0 offset:828 ; 4-byte Folded Reload
	buffer_load_dword v55, off, s[64:67], 0 offset:832 ; 4-byte Folded Reload
	;; [unrolled: 1-line block ×6, first 2 shown]
	v_add_f64 v[30:31], v[164:165], v[30:31]
	v_add_f64 v[50:51], v[164:165], v[50:51]
	s_waitcnt vmcnt(4)
	v_add_f64 v[54:55], v[64:65], -v[54:55]
	s_waitcnt vmcnt(2)
	v_add_f64 v[56:57], v[56:57], v[62:63]
	s_waitcnt vmcnt(0)
	v_add_f64 v[58:59], v[60:61], -v[58:59]
	buffer_load_dword v60, off, s[64:67], 0 offset:612 ; 4-byte Folded Reload
	buffer_load_dword v61, off, s[64:67], 0 offset:616 ; 4-byte Folded Reload
	v_add_f64 v[50:51], v[54:55], v[50:51]
	v_add_f64 v[34:35], v[56:57], v[34:35]
	;; [unrolled: 1-line block ×3, first 2 shown]
	s_waitcnt vmcnt(0)
	v_add_f64 v[28:29], v[28:29], v[60:61]
	buffer_load_dword v60, off, s[64:67], 0 offset:604 ; 4-byte Folded Reload
	buffer_load_dword v61, off, s[64:67], 0 offset:608 ; 4-byte Folded Reload
	s_waitcnt vmcnt(0)
	v_add_f64 v[4:5], v[4:5], v[60:61]
	buffer_load_dword v60, off, s[64:67], 0 offset:908 ; 4-byte Folded Reload
	buffer_load_dword v61, off, s[64:67], 0 offset:912 ; 4-byte Folded Reload
	;; [unrolled: 1-line block ×8, first 2 shown]
	s_waitcnt vmcnt(6)
	v_add_f64 v[60:61], v[70:71], -v[60:61]
	s_waitcnt vmcnt(4)
	v_add_f64 v[62:63], v[62:63], v[68:69]
	s_waitcnt vmcnt(2)
	v_add_f64 v[56:57], v[66:67], -v[56:57]
	s_waitcnt vmcnt(0)
	v_add_f64 v[28:29], v[28:29], v[64:65]
	buffer_load_dword v64, off, s[64:67], 0 offset:588 ; 4-byte Folded Reload
	buffer_load_dword v65, off, s[64:67], 0 offset:592 ; 4-byte Folded Reload
	;; [unrolled: 1-line block ×6, first 2 shown]
	v_add_f64 v[50:51], v[60:61], v[50:51]
	v_add_f64 v[34:35], v[62:63], v[34:35]
	buffer_load_dword v62, off, s[64:67], 0 offset:812 ; 4-byte Folded Reload
	buffer_load_dword v63, off, s[64:67], 0 offset:816 ; 4-byte Folded Reload
	v_add_f64 v[30:31], v[56:57], v[30:31]
	s_waitcnt vmcnt(6)
	v_add_f64 v[4:5], v[4:5], v[64:65]
	buffer_load_dword v64, off, s[64:67], 0 offset:580 ; 4-byte Folded Reload
	buffer_load_dword v65, off, s[64:67], 0 offset:584 ; 4-byte Folded Reload
	s_waitcnt vmcnt(4)
	v_add_f64 v[58:59], v[58:59], v[74:75]
	v_add_f64 v[54:55], v[76:77], -v[54:55]
	s_waitcnt vmcnt(2)
	v_add_f64 v[62:63], v[72:73], -v[62:63]
	v_add_f64 v[34:35], v[58:59], v[34:35]
	v_add_f64 v[50:51], v[54:55], v[50:51]
	v_add_f64 v[30:31], v[62:63], v[30:31]
	s_waitcnt vmcnt(0)
	v_add_f64 v[28:29], v[28:29], v[64:65]
	buffer_load_dword v64, off, s[64:67], 0 offset:572 ; 4-byte Folded Reload
	buffer_load_dword v65, off, s[64:67], 0 offset:576 ; 4-byte Folded Reload
	;; [unrolled: 1-line block ×8, first 2 shown]
	s_waitcnt vmcnt(6)
	v_add_f64 v[4:5], v[4:5], v[64:65]
	buffer_load_dword v64, off, s[64:67], 0 offset:548 ; 4-byte Folded Reload
	buffer_load_dword v65, off, s[64:67], 0 offset:552 ; 4-byte Folded Reload
	s_waitcnt vmcnt(4)
	v_add_f64 v[60:61], v[60:61], v[80:81]
	v_add_f64 v[56:57], v[82:83], -v[56:57]
	s_waitcnt vmcnt(2)
	v_add_f64 v[58:59], v[78:79], -v[58:59]
	v_add_f64 v[34:35], v[60:61], v[34:35]
	v_add_f64 v[50:51], v[56:57], v[50:51]
	;; [unrolled: 1-line block ×3, first 2 shown]
	s_waitcnt vmcnt(0)
	v_add_f64 v[28:29], v[28:29], v[64:65]
	buffer_load_dword v64, off, s[64:67], 0 offset:1172 ; 4-byte Folded Reload
	buffer_load_dword v65, off, s[64:67], 0 offset:1176 ; 4-byte Folded Reload
	;; [unrolled: 1-line block ×8, first 2 shown]
	s_waitcnt vmcnt(6)
	v_add_f64 v[4:5], v[4:5], v[64:65]
	s_waitcnt vmcnt(4)
	v_add_f64 v[54:55], v[86:87], -v[54:55]
	s_waitcnt vmcnt(2)
	v_add_f64 v[62:63], v[62:63], v[84:85]
	s_waitcnt vmcnt(0)
	v_add_f64 v[46:47], v[46:47], -v[60:61]
	buffer_load_dword v60, off, s[64:67], 0 offset:556 ; 4-byte Folded Reload
	buffer_load_dword v61, off, s[64:67], 0 offset:560 ; 4-byte Folded Reload
	v_add_f64 v[34:35], v[62:63], v[34:35]
	v_add_f64 v[30:31], v[46:47], v[30:31]
	;; [unrolled: 1-line block ×3, first 2 shown]
	s_waitcnt vmcnt(0)
	v_add_f64 v[28:29], v[28:29], v[60:61]
	buffer_load_dword v60, off, s[64:67], 0 offset:1164 ; 4-byte Folded Reload
	buffer_load_dword v61, off, s[64:67], 0 offset:1168 ; 4-byte Folded Reload
	;; [unrolled: 1-line block ×6, first 2 shown]
	s_waitcnt vmcnt(4)
	v_add_f64 v[4:5], v[4:5], v[60:61]
	buffer_load_dword v60, off, s[64:67], 0 offset:868 ; 4-byte Folded Reload
	buffer_load_dword v61, off, s[64:67], 0 offset:872 ; 4-byte Folded Reload
	s_waitcnt vmcnt(2)
	v_add_f64 v[58:59], v[58:59], v[92:93]
	v_add_f64 v[56:57], v[94:95], -v[56:57]
	v_add_f64 v[34:35], v[58:59], v[34:35]
	v_add_f64 v[46:47], v[56:57], v[46:47]
	s_waitcnt vmcnt(0)
	v_add_f64 v[36:37], v[36:37], -v[60:61]
	buffer_load_dword v60, off, s[64:67], 0 offset:564 ; 4-byte Folded Reload
	buffer_load_dword v61, off, s[64:67], 0 offset:568 ; 4-byte Folded Reload
	v_add_f64 v[30:31], v[36:37], v[30:31]
	s_waitcnt vmcnt(0)
	v_add_f64 v[28:29], v[28:29], v[60:61]
	buffer_load_dword v60, off, s[64:67], 0 offset:1156 ; 4-byte Folded Reload
	buffer_load_dword v61, off, s[64:67], 0 offset:1160 ; 4-byte Folded Reload
	;; [unrolled: 1-line block ×8, first 2 shown]
	s_waitcnt vmcnt(6)
	v_add_f64 v[4:5], v[4:5], v[60:61]
	buffer_load_dword v60, off, s[64:67], 0 offset:1148 ; 4-byte Folded Reload
	buffer_load_dword v61, off, s[64:67], 0 offset:1152 ; 4-byte Folded Reload
	s_waitcnt vmcnt(4)
	v_add_f64 v[54:55], v[54:55], v[102:103]
	s_waitcnt vmcnt(2)
	v_add_f64 v[58:59], v[100:101], -v[58:59]
	v_add_f64 v[50:51], v[136:137], -v[50:51]
	v_add_f64 v[32:33], v[54:55], v[34:35]
	v_add_f64 v[30:31], v[58:59], v[30:31]
	s_waitcnt vmcnt(0)
	v_add_f64 v[60:61], v[28:29], v[60:61]
	buffer_load_dword v28, off, s[64:67], 0 offset:1140 ; 4-byte Folded Reload
	buffer_load_dword v29, off, s[64:67], 0 offset:1144 ; 4-byte Folded Reload
	;; [unrolled: 1-line block ×4, first 2 shown]
	s_waitcnt vmcnt(2)
	v_add_f64 v[4:5], v[4:5], v[28:29]
	s_waitcnt vmcnt(0)
	v_add_f64 v[36:37], v[60:61], v[14:15]
	buffer_load_dword v14, off, s[64:67], 0 offset:1124 ; 4-byte Folded Reload
	buffer_load_dword v15, off, s[64:67], 0 offset:1128 ; 4-byte Folded Reload
	v_add_f64 v[28:29], v[22:23], v[26:27]
	v_add_f64 v[26:27], v[50:51], v[46:47]
	;; [unrolled: 1-line block ×4, first 2 shown]
	s_waitcnt vmcnt(0)
	v_add_f64 v[34:35], v[4:5], v[14:15]
	v_add_f64 v[14:15], v[40:41], v[0:1]
	;; [unrolled: 1-line block ×4, first 2 shown]
	ds_write_b128 v224, v[34:37]
	ds_write_b128 v224, v[30:33] offset:800
	ds_write_b128 v224, v[26:29] offset:1600
	ds_write_b128 v224, v[22:25] offset:2400
	ds_write_b128 v224, v[18:21] offset:3200
	ds_write_b128 v224, v[14:17] offset:4000
	ds_write_b128 v224, v[4:7] offset:4800
	ds_write_b128 v224, v[0:3] offset:5600
	ds_write_b128 v224, v[172:175] offset:6400
	ds_write_b128 v224, v[168:171] offset:7200
	buffer_load_dword v0, off, s[64:67], 0 offset:96 ; 4-byte Folded Reload
	buffer_load_dword v1, off, s[64:67], 0 offset:100 ; 4-byte Folded Reload
	buffer_load_dword v2, off, s[64:67], 0 offset:104 ; 4-byte Folded Reload
	buffer_load_dword v3, off, s[64:67], 0 offset:108 ; 4-byte Folded Reload
	s_waitcnt vmcnt(0)
	ds_write_b128 v224, v[0:3] offset:8000
	buffer_load_dword v0, off, s[64:67], 0 offset:80 ; 4-byte Folded Reload
	buffer_load_dword v1, off, s[64:67], 0 offset:84 ; 4-byte Folded Reload
	buffer_load_dword v2, off, s[64:67], 0 offset:88 ; 4-byte Folded Reload
	buffer_load_dword v3, off, s[64:67], 0 offset:92 ; 4-byte Folded Reload
	s_waitcnt vmcnt(0)
	ds_write_b128 v224, v[0:3] offset:8800
	buffer_load_dword v0, off, s[64:67], 0 offset:64 ; 4-byte Folded Reload
	buffer_load_dword v1, off, s[64:67], 0 offset:68 ; 4-byte Folded Reload
	buffer_load_dword v2, off, s[64:67], 0 offset:72 ; 4-byte Folded Reload
	buffer_load_dword v3, off, s[64:67], 0 offset:76 ; 4-byte Folded Reload
	s_waitcnt vmcnt(0)
	ds_write_b128 v224, v[0:3] offset:9600
	buffer_load_dword v0, off, s[64:67], 0 offset:48 ; 4-byte Folded Reload
	buffer_load_dword v1, off, s[64:67], 0 offset:52 ; 4-byte Folded Reload
	buffer_load_dword v2, off, s[64:67], 0 offset:56 ; 4-byte Folded Reload
	buffer_load_dword v3, off, s[64:67], 0 offset:60 ; 4-byte Folded Reload
	s_waitcnt vmcnt(0)
	ds_write_b128 v224, v[0:3] offset:10400
	buffer_load_dword v0, off, s[64:67], 0 offset:32 ; 4-byte Folded Reload
	buffer_load_dword v1, off, s[64:67], 0 offset:36 ; 4-byte Folded Reload
	buffer_load_dword v2, off, s[64:67], 0 offset:40 ; 4-byte Folded Reload
	buffer_load_dword v3, off, s[64:67], 0 offset:44 ; 4-byte Folded Reload
	s_waitcnt vmcnt(0)
	ds_write_b128 v224, v[0:3] offset:11200
	buffer_load_dword v0, off, s[64:67], 0 offset:16 ; 4-byte Folded Reload
	buffer_load_dword v1, off, s[64:67], 0 offset:20 ; 4-byte Folded Reload
	buffer_load_dword v2, off, s[64:67], 0 offset:24 ; 4-byte Folded Reload
	buffer_load_dword v3, off, s[64:67], 0 offset:28 ; 4-byte Folded Reload
	s_waitcnt vmcnt(0)
	ds_write_b128 v224, v[0:3] offset:12000
	buffer_load_dword v0, off, s[64:67], 0  ; 4-byte Folded Reload
	buffer_load_dword v1, off, s[64:67], 0 offset:4 ; 4-byte Folded Reload
	buffer_load_dword v2, off, s[64:67], 0 offset:8 ; 4-byte Folded Reload
	;; [unrolled: 1-line block ×3, first 2 shown]
	s_waitcnt vmcnt(0)
	ds_write_b128 v224, v[0:3] offset:12800
.LBB0_5:
	s_or_b64 exec, exec, s[36:37]
	v_mov_b32_e32 v0, s13
	v_addc_co_u32_e32 v15, vcc, 0, v0, vcc
	s_movk_i32 s2, 0x3520
	v_add_co_u32_e32 v8, vcc, s2, v10
	v_addc_co_u32_e32 v9, vcc, 0, v15, vcc
	s_movk_i32 s2, 0x3000
	v_add_co_u32_e32 v4, vcc, s2, v10
	v_addc_co_u32_e32 v5, vcc, 0, v15, vcc
	s_waitcnt vmcnt(0) lgkmcnt(0)
	s_barrier
	global_load_dwordx4 v[4:7], v[4:5], off offset:1312
	ds_read_b128 v[0:3], v224
	s_movk_i32 s2, 0x4000
	s_mov_b32 s14, 0x134454ff
	s_mov_b32 s15, 0xbfee6f0e
	;; [unrolled: 1-line block ×13, first 2 shown]
	s_waitcnt vmcnt(0) lgkmcnt(0)
	v_mul_f64 v[11:12], v[2:3], v[6:7]
	v_fma_f64 v[11:12], v[0:1], v[4:5], -v[11:12]
	v_mul_f64 v[0:1], v[0:1], v[6:7]
	v_fma_f64 v[13:14], v[2:3], v[4:5], v[0:1]
	global_load_dwordx4 v[4:7], v[8:9], off offset:1360
	ds_read_b128 v[0:3], v224 offset:1360
	ds_write_b128 v224, v[11:14]
	s_waitcnt vmcnt(0) lgkmcnt(1)
	v_mul_f64 v[11:12], v[2:3], v[6:7]
	v_fma_f64 v[11:12], v[0:1], v[4:5], -v[11:12]
	v_mul_f64 v[0:1], v[0:1], v[6:7]
	v_fma_f64 v[13:14], v[2:3], v[4:5], v[0:1]
	global_load_dwordx4 v[4:7], v[8:9], off offset:2720
	ds_read_b128 v[0:3], v224 offset:2720
	ds_write_b128 v224, v[11:14] offset:1360
	s_waitcnt vmcnt(0) lgkmcnt(1)
	v_mul_f64 v[11:12], v[2:3], v[6:7]
	v_fma_f64 v[11:12], v[0:1], v[4:5], -v[11:12]
	v_mul_f64 v[0:1], v[0:1], v[6:7]
	v_fma_f64 v[13:14], v[2:3], v[4:5], v[0:1]
	global_load_dwordx4 v[4:7], v[8:9], off offset:4080
	ds_read_b128 v[0:3], v224 offset:4080
	ds_write_b128 v224, v[11:14] offset:2720
	s_waitcnt vmcnt(0) lgkmcnt(1)
	v_mul_f64 v[8:9], v[2:3], v[6:7]
	v_fma_f64 v[11:12], v[0:1], v[4:5], -v[8:9]
	v_mul_f64 v[0:1], v[0:1], v[6:7]
	v_add_co_u32_e32 v8, vcc, s2, v10
	v_addc_co_u32_e32 v9, vcc, 0, v15, vcc
	s_movk_i32 s2, 0x5000
	v_fma_f64 v[13:14], v[2:3], v[4:5], v[0:1]
	global_load_dwordx4 v[4:7], v[8:9], off offset:2656
	ds_read_b128 v[0:3], v224 offset:5440
	ds_write_b128 v224, v[11:14] offset:4080
	s_waitcnt vmcnt(0) lgkmcnt(1)
	v_mul_f64 v[11:12], v[2:3], v[6:7]
	v_fma_f64 v[11:12], v[0:1], v[4:5], -v[11:12]
	v_mul_f64 v[0:1], v[0:1], v[6:7]
	v_fma_f64 v[13:14], v[2:3], v[4:5], v[0:1]
	global_load_dwordx4 v[4:7], v[8:9], off offset:4016
	ds_read_b128 v[0:3], v224 offset:6800
	ds_write_b128 v224, v[11:14] offset:5440
	s_waitcnt vmcnt(0) lgkmcnt(1)
	v_mul_f64 v[8:9], v[2:3], v[6:7]
	v_fma_f64 v[11:12], v[0:1], v[4:5], -v[8:9]
	v_mul_f64 v[0:1], v[0:1], v[6:7]
	v_add_co_u32_e32 v8, vcc, s2, v10
	v_addc_co_u32_e32 v9, vcc, 0, v15, vcc
	s_movk_i32 s2, 0x6000
	v_fma_f64 v[13:14], v[2:3], v[4:5], v[0:1]
	global_load_dwordx4 v[4:7], v[8:9], off offset:1280
	ds_read_b128 v[0:3], v224 offset:8160
	ds_write_b128 v224, v[11:14] offset:6800
	s_waitcnt vmcnt(0) lgkmcnt(1)
	v_mul_f64 v[11:12], v[2:3], v[6:7]
	v_fma_f64 v[11:12], v[0:1], v[4:5], -v[11:12]
	v_mul_f64 v[0:1], v[0:1], v[6:7]
	v_fma_f64 v[13:14], v[2:3], v[4:5], v[0:1]
	global_load_dwordx4 v[4:7], v[8:9], off offset:2640
	ds_read_b128 v[0:3], v224 offset:9520
	ds_write_b128 v224, v[11:14] offset:8160
	s_waitcnt vmcnt(0) lgkmcnt(1)
	v_mul_f64 v[11:12], v[2:3], v[6:7]
	v_fma_f64 v[11:12], v[0:1], v[4:5], -v[11:12]
	v_mul_f64 v[0:1], v[0:1], v[6:7]
	;; [unrolled: 8-line block ×3, first 2 shown]
	v_fma_f64 v[13:14], v[2:3], v[4:5], v[0:1]
	v_add_co_u32_e32 v4, vcc, s2, v10
	v_addc_co_u32_e32 v5, vcc, 0, v15, vcc
	global_load_dwordx4 v[4:7], v[4:5], off offset:1264
	ds_read_b128 v[0:3], v224 offset:12240
	s_mov_b32 s2, 0x372fe950
	ds_write_b128 v224, v[11:14] offset:10880
	s_mov_b32 s3, 0x3fd3c6ef
	s_mov_b32 s20, s2
	s_waitcnt vmcnt(0) lgkmcnt(1)
	v_mul_f64 v[8:9], v[2:3], v[6:7]
	v_fma_f64 v[8:9], v[0:1], v[4:5], -v[8:9]
	v_mul_f64 v[0:1], v[0:1], v[6:7]
	v_fma_f64 v[10:11], v[2:3], v[4:5], v[0:1]
	ds_write_b128 v224, v[8:11] offset:12240
	s_waitcnt lgkmcnt(0)
	s_barrier
	ds_read_b128 v[14:17], v224
	ds_read_b128 v[168:171], v224 offset:1360
	ds_read_b128 v[18:21], v224 offset:2720
	;; [unrolled: 1-line block ×9, first 2 shown]
	s_waitcnt lgkmcnt(5)
	v_add_f64 v[8:9], v[18:19], -v[22:23]
	s_waitcnt lgkmcnt(3)
	v_add_f64 v[2:3], v[22:23], v[26:27]
	v_add_f64 v[10:11], v[24:25], -v[28:29]
	s_waitcnt lgkmcnt(1)
	v_add_f64 v[6:7], v[20:21], -v[32:33]
	v_add_f64 v[12:13], v[30:31], -v[26:27]
	v_add_f64 v[0:1], v[14:15], v[18:19]
	v_add_f64 v[34:35], v[26:27], -v[30:31]
	s_waitcnt lgkmcnt(0)
	s_barrier
	v_fma_f64 v[2:3], v[2:3], -0.5, v[14:15]
	v_add_f64 v[8:9], v[8:9], v[12:13]
	v_add_f64 v[0:1], v[0:1], v[22:23]
	v_fma_f64 v[4:5], v[6:7], s[14:15], v[2:3]
	v_fma_f64 v[2:3], v[6:7], s[12:13], v[2:3]
	v_add_f64 v[0:1], v[0:1], v[26:27]
	v_fma_f64 v[4:5], v[10:11], s[6:7], v[4:5]
	v_fma_f64 v[2:3], v[10:11], s[16:17], v[2:3]
	;; [unrolled: 3-line block ×3, first 2 shown]
	v_add_f64 v[8:9], v[18:19], v[30:31]
	v_fma_f64 v[12:13], v[8:9], -0.5, v[14:15]
	v_add_f64 v[14:15], v[22:23], -v[18:19]
	v_add_f64 v[18:19], v[18:19], -v[30:31]
	;; [unrolled: 1-line block ×5, first 2 shown]
	v_fma_f64 v[8:9], v[10:11], s[12:13], v[12:13]
	v_fma_f64 v[10:11], v[10:11], s[14:15], v[12:13]
	v_add_f64 v[14:15], v[14:15], v[34:35]
	v_add_f64 v[12:13], v[24:25], v[28:29]
	v_add_f64 v[34:35], v[176:177], -v[180:181]
	v_add_f64 v[26:27], v[26:27], v[30:31]
	v_add_f64 v[30:31], v[164:165], -v[172:173]
	v_fma_f64 v[8:9], v[6:7], s[6:7], v[8:9]
	v_fma_f64 v[6:7], v[6:7], s[16:17], v[10:11]
	;; [unrolled: 1-line block ×4, first 2 shown]
	v_fma_f64 v[14:15], v[12:13], -0.5, v[16:17]
	v_add_f64 v[6:7], v[16:17], v[20:21]
	v_fma_f64 v[12:13], v[18:19], s[12:13], v[14:15]
	v_fma_f64 v[14:15], v[18:19], s[14:15], v[14:15]
	v_add_f64 v[6:7], v[6:7], v[24:25]
	v_fma_f64 v[12:13], v[22:23], s[16:17], v[12:13]
	v_fma_f64 v[14:15], v[22:23], s[6:7], v[14:15]
	v_add_f64 v[6:7], v[6:7], v[28:29]
	v_fma_f64 v[12:13], v[26:27], s[2:3], v[12:13]
	v_fma_f64 v[14:15], v[26:27], s[2:3], v[14:15]
	v_add_f64 v[26:27], v[20:21], v[32:33]
	v_add_f64 v[20:21], v[24:25], -v[20:21]
	v_add_f64 v[24:25], v[28:29], -v[32:33]
	v_add_f64 v[6:7], v[6:7], v[32:33]
	v_add_f64 v[28:29], v[174:175], -v[178:179]
	v_add_f64 v[32:33], v[180:181], -v[176:177]
	v_fma_f64 v[26:27], v[26:27], -0.5, v[16:17]
	v_add_f64 v[20:21], v[20:21], v[24:25]
	v_add_f64 v[24:25], v[166:167], -v[182:183]
	v_add_f64 v[30:31], v[30:31], v[32:33]
	v_fma_f64 v[16:17], v[22:23], s[14:15], v[26:27]
	v_fma_f64 v[22:23], v[22:23], s[12:13], v[26:27]
	;; [unrolled: 1-line block ×4, first 2 shown]
	v_add_f64 v[22:23], v[172:173], v[176:177]
	v_fma_f64 v[16:17], v[20:21], s[2:3], v[16:17]
	v_fma_f64 v[18:19], v[20:21], s[2:3], v[18:19]
	v_fma_f64 v[22:23], v[22:23], -0.5, v[168:169]
	v_add_f64 v[20:21], v[168:169], v[164:165]
	v_fma_f64 v[26:27], v[24:25], s[14:15], v[22:23]
	v_fma_f64 v[22:23], v[24:25], s[12:13], v[22:23]
	v_add_f64 v[20:21], v[20:21], v[172:173]
	v_fma_f64 v[26:27], v[28:29], s[6:7], v[26:27]
	v_fma_f64 v[22:23], v[28:29], s[16:17], v[22:23]
	;; [unrolled: 3-line block ×3, first 2 shown]
	v_add_f64 v[22:23], v[164:165], v[180:181]
	v_add_f64 v[30:31], v[172:173], -v[164:165]
	v_add_f64 v[20:21], v[20:21], v[180:181]
	v_fma_f64 v[22:23], v[22:23], -0.5, v[168:169]
	v_add_f64 v[30:31], v[30:31], v[34:35]
	v_add_f64 v[34:35], v[182:183], -v[178:179]
	v_fma_f64 v[26:27], v[28:29], s[12:13], v[22:23]
	v_fma_f64 v[22:23], v[28:29], s[14:15], v[22:23]
	v_add_f64 v[28:29], v[172:173], -v[176:177]
	v_fma_f64 v[26:27], v[24:25], s[6:7], v[26:27]
	v_fma_f64 v[22:23], v[24:25], s[16:17], v[22:23]
	;; [unrolled: 3-line block ×3, first 2 shown]
	v_add_f64 v[22:23], v[170:171], v[166:167]
	v_add_f64 v[30:31], v[166:167], -v[174:175]
	v_add_f64 v[22:23], v[22:23], v[174:175]
	v_add_f64 v[30:31], v[30:31], v[34:35]
	v_add_f64 v[34:35], v[178:179], -v[182:183]
	v_add_f64 v[22:23], v[22:23], v[178:179]
	v_add_f64 v[44:45], v[22:23], v[182:183]
	;; [unrolled: 1-line block ×3, first 2 shown]
	v_fma_f64 v[22:23], v[22:23], -0.5, v[170:171]
	v_fma_f64 v[26:27], v[24:25], s[12:13], v[22:23]
	v_fma_f64 v[22:23], v[24:25], s[14:15], v[22:23]
	;; [unrolled: 1-line block ×6, first 2 shown]
	v_add_f64 v[22:23], v[166:167], v[182:183]
	v_add_f64 v[30:31], v[174:175], -v[166:167]
	v_fma_f64 v[22:23], v[22:23], -0.5, v[170:171]
	v_add_f64 v[30:31], v[30:31], v[34:35]
	v_fma_f64 v[26:27], v[28:29], s[14:15], v[22:23]
	v_fma_f64 v[22:23], v[28:29], s[12:13], v[22:23]
	v_mul_f64 v[28:29], v[32:33], s[16:17]
	v_fma_f64 v[26:27], v[24:25], s[16:17], v[26:27]
	v_fma_f64 v[22:23], v[24:25], s[6:7], v[22:23]
	v_mul_f64 v[24:25], v[46:47], s[6:7]
	v_fma_f64 v[62:63], v[46:47], s[18:19], v[28:29]
	v_fma_f64 v[50:51], v[30:31], s[2:3], v[26:27]
	;; [unrolled: 1-line block ×4, first 2 shown]
	v_add_f64 v[22:23], v[0:1], v[20:21]
	v_add_f64 v[28:29], v[12:13], v[62:63]
	v_add_f64 v[0:1], v[0:1], -v[20:21]
	v_mul_f64 v[24:25], v[50:51], s[14:15]
	v_mul_f64 v[32:33], v[50:51], s[2:3]
	v_add_f64 v[26:27], v[4:5], v[54:55]
	v_add_f64 v[4:5], v[4:5], -v[54:55]
	v_fma_f64 v[56:57], v[36:37], s[2:3], v[24:25]
	v_mul_f64 v[24:25], v[52:53], s[14:15]
	v_fma_f64 v[50:51], v[36:37], s[12:13], v[32:33]
	v_mul_f64 v[36:37], v[52:53], s[20:21]
	v_add_f64 v[30:31], v[8:9], v[56:57]
	v_fma_f64 v[58:59], v[42:43], s[20:21], v[24:25]
	v_mul_f64 v[24:25], v[48:49], s[6:7]
	v_fma_f64 v[52:53], v[42:43], s[12:13], v[36:37]
	v_mul_f64 v[42:43], v[48:49], s[22:23]
	v_add_f64 v[32:33], v[16:17], v[50:51]
	v_add_f64 v[8:9], v[8:9], -v[56:57]
	v_add_f64 v[34:35], v[10:11], v[58:59]
	v_fma_f64 v[60:61], v[40:41], s[22:23], v[24:25]
	v_add_f64 v[24:25], v[6:7], v[44:45]
	v_fma_f64 v[48:49], v[40:41], s[16:17], v[42:43]
	v_add_f64 v[36:37], v[18:19], v[52:53]
	v_add_f64 v[42:43], v[10:11], -v[58:59]
	v_add_f64 v[10:11], v[16:17], -v[50:51]
	v_add_f64 v[38:39], v[2:3], v[60:61]
	v_add_f64 v[46:47], v[2:3], -v[60:61]
	v_add_f64 v[40:41], v[14:15], v[48:49]
	v_add_f64 v[2:3], v[6:7], -v[44:45]
	v_add_f64 v[6:7], v[12:13], -v[62:63]
	;; [unrolled: 1-line block ×4, first 2 shown]
	ds_write_b128 v255, v[22:25]
	ds_write_b128 v255, v[26:29] offset:16
	ds_write_b128 v255, v[30:33] offset:32
	;; [unrolled: 1-line block ×9, first 2 shown]
	s_waitcnt lgkmcnt(0)
	s_barrier
	ds_read_b128 v[168:171], v224
	ds_read_b128 v[0:3], v224 offset:2720
	ds_read_b128 v[4:7], v224 offset:5440
	;; [unrolled: 1-line block ×9, first 2 shown]
	s_waitcnt lgkmcnt(8)
	v_mul_f64 v[32:33], v[134:135], v[2:3]
	s_waitcnt lgkmcnt(0)
	s_barrier
	v_fma_f64 v[32:33], v[132:133], v[0:1], v[32:33]
	v_mul_f64 v[0:1], v[134:135], v[0:1]
	v_fma_f64 v[34:35], v[132:133], v[2:3], -v[0:1]
	v_mul_f64 v[0:1], v[118:119], v[6:7]
	v_mul_f64 v[2:3], v[126:127], v[22:23]
	v_fma_f64 v[36:37], v[116:117], v[4:5], v[0:1]
	v_mul_f64 v[0:1], v[118:119], v[4:5]
	v_mul_f64 v[4:5], v[122:123], v[26:27]
	v_fma_f64 v[38:39], v[116:117], v[6:7], -v[0:1]
	v_mul_f64 v[0:1], v[110:111], v[10:11]
	v_mul_f64 v[6:7], v[114:115], v[30:31]
	v_fma_f64 v[40:41], v[108:109], v[8:9], v[0:1]
	v_mul_f64 v[0:1], v[110:111], v[8:9]
	v_fma_f64 v[42:43], v[108:109], v[10:11], -v[0:1]
	v_mul_f64 v[0:1], v[106:107], v[14:15]
	v_fma_f64 v[10:11], v[124:125], v[20:21], v[2:3]
	v_mul_f64 v[2:3], v[126:127], v[20:21]
	v_fma_f64 v[44:45], v[104:105], v[12:13], v[0:1]
	;; [unrolled: 2-line block ×3, first 2 shown]
	v_mul_f64 v[4:5], v[122:123], v[24:25]
	v_fma_f64 v[2:3], v[124:125], v[22:23], -v[2:3]
	v_add_f64 v[22:23], v[38:39], -v[42:43]
	v_add_f64 v[24:25], v[32:33], -v[36:37]
	v_fma_f64 v[46:47], v[104:105], v[14:15], -v[0:1]
	v_mul_f64 v[0:1], v[130:131], v[18:19]
	v_fma_f64 v[4:5], v[120:121], v[26:27], -v[4:5]
	v_add_f64 v[26:27], v[44:45], -v[40:41]
	v_fma_f64 v[14:15], v[112:113], v[28:29], v[6:7]
	v_mul_f64 v[6:7], v[114:115], v[28:29]
	v_fma_f64 v[8:9], v[128:129], v[16:17], v[0:1]
	v_mul_f64 v[0:1], v[130:131], v[16:17]
	v_add_f64 v[16:17], v[168:169], v[32:33]
	v_add_f64 v[24:25], v[24:25], v[26:27]
	v_fma_f64 v[6:7], v[112:113], v[30:31], -v[6:7]
	v_add_f64 v[26:27], v[40:41], -v[44:45]
	v_fma_f64 v[0:1], v[128:129], v[18:19], -v[0:1]
	v_add_f64 v[16:17], v[16:17], v[36:37]
	v_add_f64 v[18:19], v[34:35], -v[46:47]
	v_add_f64 v[16:17], v[16:17], v[40:41]
	v_add_f64 v[104:105], v[16:17], v[44:45]
	;; [unrolled: 1-line block ×3, first 2 shown]
	v_fma_f64 v[16:17], v[16:17], -0.5, v[168:169]
	v_fma_f64 v[20:21], v[18:19], s[14:15], v[16:17]
	v_fma_f64 v[16:17], v[18:19], s[12:13], v[16:17]
	;; [unrolled: 1-line block ×6, first 2 shown]
	v_add_f64 v[16:17], v[32:33], v[44:45]
	v_add_f64 v[24:25], v[36:37], -v[32:33]
	v_fma_f64 v[16:17], v[16:17], -0.5, v[168:169]
	v_add_f64 v[24:25], v[24:25], v[26:27]
	v_add_f64 v[26:27], v[46:47], -v[42:43]
	v_fma_f64 v[20:21], v[22:23], s[12:13], v[16:17]
	v_fma_f64 v[16:17], v[22:23], s[14:15], v[16:17]
	v_add_f64 v[22:23], v[36:37], -v[40:41]
	v_fma_f64 v[20:21], v[18:19], s[6:7], v[20:21]
	v_fma_f64 v[16:17], v[18:19], s[16:17], v[16:17]
	;; [unrolled: 3-line block ×3, first 2 shown]
	v_add_f64 v[16:17], v[170:171], v[34:35]
	v_add_f64 v[24:25], v[34:35], -v[38:39]
	v_add_f64 v[16:17], v[16:17], v[38:39]
	v_add_f64 v[24:25], v[24:25], v[26:27]
	v_add_f64 v[26:27], v[42:43], -v[46:47]
	v_add_f64 v[16:17], v[16:17], v[42:43]
	v_add_f64 v[106:107], v[16:17], v[46:47]
	;; [unrolled: 1-line block ×3, first 2 shown]
	v_fma_f64 v[16:17], v[16:17], -0.5, v[170:171]
	v_fma_f64 v[20:21], v[18:19], s[12:13], v[16:17]
	v_fma_f64 v[16:17], v[18:19], s[14:15], v[16:17]
	v_fma_f64 v[20:21], v[22:23], s[16:17], v[20:21]
	v_fma_f64 v[16:17], v[22:23], s[6:7], v[16:17]
	v_fma_f64 v[110:111], v[24:25], s[2:3], v[20:21]
	v_fma_f64 v[114:115], v[24:25], s[2:3], v[16:17]
	v_add_f64 v[16:17], v[34:35], v[46:47]
	v_add_f64 v[24:25], v[38:39], -v[34:35]
	v_fma_f64 v[16:17], v[16:17], -0.5, v[170:171]
	v_add_f64 v[24:25], v[24:25], v[26:27]
	v_add_f64 v[26:27], v[14:15], -v[12:13]
	v_fma_f64 v[20:21], v[22:23], s[14:15], v[16:17]
	v_fma_f64 v[16:17], v[22:23], s[12:13], v[16:17]
	v_add_f64 v[22:23], v[2:3], -v[4:5]
	v_fma_f64 v[20:21], v[18:19], s[16:17], v[20:21]
	v_fma_f64 v[16:17], v[18:19], s[6:7], v[16:17]
	;; [unrolled: 3-line block ×3, first 2 shown]
	v_add_f64 v[16:17], v[164:165], v[8:9]
	v_add_f64 v[24:25], v[8:9], -v[10:11]
	v_add_f64 v[16:17], v[16:17], v[10:11]
	v_add_f64 v[24:25], v[24:25], v[26:27]
	v_add_f64 v[26:27], v[12:13], -v[14:15]
	v_add_f64 v[16:17], v[16:17], v[12:13]
	v_add_f64 v[124:125], v[16:17], v[14:15]
	;; [unrolled: 1-line block ×3, first 2 shown]
	v_fma_f64 v[16:17], v[16:17], -0.5, v[164:165]
	v_fma_f64 v[20:21], v[18:19], s[14:15], v[16:17]
	v_fma_f64 v[16:17], v[18:19], s[12:13], v[16:17]
	;; [unrolled: 1-line block ×6, first 2 shown]
	v_add_f64 v[16:17], v[8:9], v[14:15]
	v_add_f64 v[24:25], v[10:11], -v[8:9]
	v_add_f64 v[8:9], v[8:9], -v[14:15]
	;; [unrolled: 1-line block ×3, first 2 shown]
	v_fma_f64 v[16:17], v[16:17], -0.5, v[164:165]
	v_add_f64 v[24:25], v[24:25], v[26:27]
	v_fma_f64 v[20:21], v[22:23], s[12:13], v[16:17]
	v_fma_f64 v[16:17], v[22:23], s[14:15], v[16:17]
	;; [unrolled: 1-line block ×4, first 2 shown]
	v_add_f64 v[18:19], v[6:7], -v[4:5]
	v_fma_f64 v[132:133], v[24:25], s[2:3], v[20:21]
	v_fma_f64 v[164:165], v[24:25], s[2:3], v[16:17]
	v_add_f64 v[16:17], v[166:167], v[0:1]
	v_add_f64 v[16:17], v[16:17], v[2:3]
	;; [unrolled: 1-line block ×5, first 2 shown]
	v_fma_f64 v[16:17], v[16:17], -0.5, v[166:167]
	v_fma_f64 v[14:15], v[8:9], s[12:13], v[16:17]
	v_fma_f64 v[12:13], v[10:11], s[16:17], v[14:15]
	v_add_f64 v[14:15], v[0:1], -v[2:3]
	v_add_f64 v[14:15], v[14:15], v[18:19]
	v_fma_f64 v[130:131], v[14:15], s[2:3], v[12:13]
	v_fma_f64 v[12:13], v[8:9], s[14:15], v[16:17]
	;; [unrolled: 1-line block ×4, first 2 shown]
	v_add_f64 v[12:13], v[0:1], v[6:7]
	v_add_f64 v[0:1], v[2:3], -v[0:1]
	v_add_f64 v[2:3], v[4:5], -v[6:7]
	v_fma_f64 v[12:13], v[12:13], -0.5, v[166:167]
	v_add_f64 v[0:1], v[0:1], v[2:3]
	v_fma_f64 v[14:15], v[10:11], s[14:15], v[12:13]
	v_fma_f64 v[2:3], v[10:11], s[12:13], v[12:13]
	;; [unrolled: 1-line block ×6, first 2 shown]
	buffer_load_dword v0, off, s[64:67], 0 offset:284 ; 4-byte Folded Reload
	s_waitcnt vmcnt(0)
	ds_write_b128 v0, v[104:107]
	ds_write_b128 v0, v[108:111] offset:160
	ds_write_b128 v0, v[116:119] offset:320
	;; [unrolled: 1-line block ×4, first 2 shown]
	buffer_load_dword v0, off, s[64:67], 0 offset:288 ; 4-byte Folded Reload
	s_waitcnt vmcnt(0)
	ds_write_b128 v0, v[124:127]
	ds_write_b128 v0, v[128:131] offset:160
	ds_write_b128 v0, v[132:135] offset:320
	;; [unrolled: 1-line block ×4, first 2 shown]
	s_waitcnt lgkmcnt(0)
	s_barrier
	s_and_saveexec_b64 s[2:3], s[0:1]
	s_cbranch_execz .LBB0_7
; %bb.6:
	ds_read_b128 v[104:107], v224
	ds_read_b128 v[108:111], v224 offset:800
	ds_read_b128 v[116:119], v224 offset:1600
	ds_read_b128 v[120:123], v224 offset:2400
	ds_read_b128 v[112:115], v224 offset:3200
	ds_read_b128 v[124:127], v224 offset:4000
	ds_read_b128 v[128:131], v224 offset:4800
	ds_read_b128 v[132:135], v224 offset:5600
	ds_read_b128 v[164:167], v224 offset:6400
	ds_read_b128 v[168:171], v224 offset:7200
	ds_read_b128 v[0:3], v224 offset:8000
	s_waitcnt lgkmcnt(0)
	buffer_store_dword v0, off, s[64:67], 0 offset:96 ; 4-byte Folded Spill
	s_nop 0
	buffer_store_dword v1, off, s[64:67], 0 offset:100 ; 4-byte Folded Spill
	buffer_store_dword v2, off, s[64:67], 0 offset:104 ; 4-byte Folded Spill
	buffer_store_dword v3, off, s[64:67], 0 offset:108 ; 4-byte Folded Spill
	ds_read_b128 v[0:3], v224 offset:8800
	s_waitcnt lgkmcnt(0)
	buffer_store_dword v0, off, s[64:67], 0 offset:80 ; 4-byte Folded Spill
	s_nop 0
	buffer_store_dword v1, off, s[64:67], 0 offset:84 ; 4-byte Folded Spill
	buffer_store_dword v2, off, s[64:67], 0 offset:88 ; 4-byte Folded Spill
	buffer_store_dword v3, off, s[64:67], 0 offset:92 ; 4-byte Folded Spill
	ds_read_b128 v[0:3], v224 offset:9600
	;; [unrolled: 7-line block ×6, first 2 shown]
	s_waitcnt lgkmcnt(0)
	buffer_store_dword v0, off, s[64:67], 0 ; 4-byte Folded Spill
	s_nop 0
	buffer_store_dword v1, off, s[64:67], 0 offset:4 ; 4-byte Folded Spill
	buffer_store_dword v2, off, s[64:67], 0 offset:8 ; 4-byte Folded Spill
	;; [unrolled: 1-line block ×3, first 2 shown]
.LBB0_7:
	s_or_b64 exec, exec, s[2:3]
	s_and_saveexec_b64 s[2:3], s[0:1]
	s_cbranch_execz .LBB0_9
; %bb.8:
	buffer_load_dword v20, off, s[64:67], 0 offset:516 ; 4-byte Folded Reload
	buffer_load_dword v21, off, s[64:67], 0 offset:520 ; 4-byte Folded Reload
	buffer_load_dword v22, off, s[64:67], 0 offset:524 ; 4-byte Folded Reload
	buffer_load_dword v23, off, s[64:67], 0 offset:528 ; 4-byte Folded Reload
	buffer_load_dword v24, off, s[64:67], 0 offset:532 ; 4-byte Folded Reload
	buffer_load_dword v25, off, s[64:67], 0 offset:536 ; 4-byte Folded Reload
	buffer_load_dword v26, off, s[64:67], 0 offset:540 ; 4-byte Folded Reload
	buffer_load_dword v27, off, s[64:67], 0 offset:544 ; 4-byte Folded Reload
	buffer_load_dword v12, off, s[64:67], 0 offset:468 ; 4-byte Folded Reload
	buffer_load_dword v13, off, s[64:67], 0 offset:472 ; 4-byte Folded Reload
	buffer_load_dword v14, off, s[64:67], 0 offset:476 ; 4-byte Folded Reload
	buffer_load_dword v15, off, s[64:67], 0 offset:480 ; 4-byte Folded Reload
	buffer_load_dword v16, off, s[64:67], 0 offset:500 ; 4-byte Folded Reload
	buffer_load_dword v17, off, s[64:67], 0 offset:504 ; 4-byte Folded Reload
	buffer_load_dword v18, off, s[64:67], 0 offset:508 ; 4-byte Folded Reload
	buffer_load_dword v19, off, s[64:67], 0 offset:512 ; 4-byte Folded Reload
	buffer_load_dword v36, off, s[64:67], 0 offset:96 ; 4-byte Folded Reload
	buffer_load_dword v37, off, s[64:67], 0 offset:100 ; 4-byte Folded Reload
	buffer_load_dword v38, off, s[64:67], 0 offset:104 ; 4-byte Folded Reload
	buffer_load_dword v39, off, s[64:67], 0 offset:108 ; 4-byte Folded Reload
	s_mov_b32 s18, 0xacd6c6b4
	s_mov_b32 s19, 0xbfc7851a
	;; [unrolled: 1-line block ×45, first 2 shown]
	s_waitcnt vmcnt(16)
	v_mul_f64 v[0:1], v[22:23], v[166:167]
	s_waitcnt vmcnt(12)
	v_mul_f64 v[2:3], v[26:27], v[170:171]
	v_mul_f64 v[10:11], v[26:27], v[168:169]
	;; [unrolled: 1-line block ×3, first 2 shown]
	s_waitcnt vmcnt(0)
	v_mul_f64 v[6:7], v[18:19], v[38:39]
	v_mul_f64 v[4:5], v[14:15], v[134:135]
	v_fma_f64 v[164:165], v[20:21], v[164:165], v[0:1]
	v_fma_f64 v[102:103], v[24:25], v[168:169], v[2:3]
	v_fma_f64 v[96:97], v[24:25], v[170:171], -v[10:11]
	buffer_load_dword v22, off, s[64:67], 0 offset:404 ; 4-byte Folded Reload
	buffer_load_dword v23, off, s[64:67], 0 offset:408 ; 4-byte Folded Reload
	buffer_load_dword v24, off, s[64:67], 0 offset:412 ; 4-byte Folded Reload
	buffer_load_dword v25, off, s[64:67], 0 offset:416 ; 4-byte Folded Reload
	buffer_load_dword v26, off, s[64:67], 0 offset:484 ; 4-byte Folded Reload
	buffer_load_dword v27, off, s[64:67], 0 offset:488 ; 4-byte Folded Reload
	buffer_load_dword v28, off, s[64:67], 0 offset:492 ; 4-byte Folded Reload
	buffer_load_dword v29, off, s[64:67], 0 offset:496 ; 4-byte Folded Reload
	buffer_load_dword v44, off, s[64:67], 0 offset:80 ; 4-byte Folded Reload
	buffer_load_dword v45, off, s[64:67], 0 offset:84 ; 4-byte Folded Reload
	buffer_load_dword v46, off, s[64:67], 0 offset:88 ; 4-byte Folded Reload
	buffer_load_dword v47, off, s[64:67], 0 offset:92 ; 4-byte Folded Reload
	v_fma_f64 v[98:99], v[16:17], v[36:37], v[6:7]
	v_fma_f64 v[166:167], v[20:21], v[166:167], -v[8:9]
	v_mul_f64 v[8:9], v[18:19], v[36:37]
	buffer_load_dword v18, off, s[64:67], 0 offset:356 ; 4-byte Folded Reload
	buffer_load_dword v19, off, s[64:67], 0 offset:360 ; 4-byte Folded Reload
	;; [unrolled: 1-line block ×12, first 2 shown]
	v_fma_f64 v[168:169], v[12:13], v[132:133], v[4:5]
	v_mul_f64 v[4:5], v[14:15], v[132:133]
	v_add_f64 v[100:101], v[164:165], -v[102:103]
	v_add_f64 v[192:193], v[164:165], v[102:103]
	v_add_f64 v[86:87], v[166:167], v[96:97]
	v_fma_f64 v[84:85], v[16:17], v[38:39], -v[8:9]
	buffer_load_dword v14, off, s[64:67], 0 offset:340 ; 4-byte Folded Reload
	buffer_load_dword v15, off, s[64:67], 0 offset:344 ; 4-byte Folded Reload
	;; [unrolled: 1-line block ×4, first 2 shown]
	v_add_f64 v[188:189], v[166:167], -v[96:97]
	v_add_f64 v[170:171], v[168:169], -v[98:99]
	v_add_f64 v[198:199], v[168:169], v[98:99]
	v_mul_f64 v[6:7], v[100:101], s[46:47]
	s_waitcnt vmcnt(24)
	v_mul_f64 v[0:1], v[24:25], v[130:131]
	s_waitcnt vmcnt(16)
	v_mul_f64 v[2:3], v[28:29], v[46:47]
	v_mul_f64 v[8:9], v[28:29], v[44:45]
	s_waitcnt vmcnt(12)
	v_mul_f64 v[10:11], v[20:21], v[126:127]
	v_fma_f64 v[132:133], v[22:23], v[128:129], v[0:1]
	v_fma_f64 v[94:95], v[26:27], v[44:45], v[2:3]
	buffer_load_dword v38, off, s[64:67], 0 offset:452 ; 4-byte Folded Reload
	buffer_load_dword v39, off, s[64:67], 0 offset:456 ; 4-byte Folded Reload
	;; [unrolled: 1-line block ×8, first 2 shown]
	v_mul_f64 v[2:3], v[24:25], v[128:129]
	v_fma_f64 v[128:129], v[12:13], v[134:135], -v[4:5]
	s_waitcnt vmcnt(12)
	v_mul_f64 v[4:5], v[32:33], v[36:37]
	v_fma_f64 v[88:89], v[26:27], v[46:47], -v[8:9]
	v_mul_f64 v[8:9], v[32:33], v[34:35]
	s_waitcnt vmcnt(8)
	v_mul_f64 v[12:13], v[16:17], v[114:115]
	v_fma_f64 v[134:135], v[18:19], v[124:125], v[10:11]
	v_add_f64 v[92:93], v[132:133], -v[94:95]
	v_fma_f64 v[130:131], v[22:23], v[130:131], -v[2:3]
	buffer_load_dword v22, off, s[64:67], 0 offset:324 ; 4-byte Folded Reload
	buffer_load_dword v23, off, s[64:67], 0 offset:328 ; 4-byte Folded Reload
	;; [unrolled: 1-line block ×4, first 2 shown]
	v_fma_f64 v[90:91], v[30:31], v[34:35], v[4:5]
	v_mul_f64 v[4:5], v[20:21], v[124:125]
	buffer_load_dword v26, off, s[64:67], 0 offset:372 ; 4-byte Folded Reload
	buffer_load_dword v27, off, s[64:67], 0 offset:376 ; 4-byte Folded Reload
	;; [unrolled: 1-line block ×8, first 2 shown]
	v_fma_f64 v[82:83], v[30:31], v[36:37], -v[8:9]
	v_fma_f64 v[124:125], v[14:15], v[112:113], v[12:13]
	v_add_f64 v[190:191], v[128:129], -v[84:85]
	v_add_f64 v[194:195], v[130:131], -v[88:89]
	v_add_f64 v[200:201], v[132:133], v[94:95]
	v_add_f64 v[152:153], v[134:135], -v[90:91]
	v_fma_f64 v[126:127], v[18:19], v[126:127], -v[4:5]
	buffer_load_dword v18, off, s[64:67], 0 offset:308 ; 4-byte Folded Reload
	buffer_load_dword v19, off, s[64:67], 0 offset:312 ; 4-byte Folded Reload
	;; [unrolled: 1-line block ×4, first 2 shown]
	v_add_f64 v[202:203], v[134:135], v[90:91]
	v_mul_f64 v[0:1], v[170:171], s[6:7]
	v_add_f64 v[142:143], v[128:129], v[84:85]
	v_mul_f64 v[68:69], v[152:153], s[48:49]
	v_add_f64 v[196:197], v[126:127], -v[82:83]
	s_waitcnt vmcnt(16)
	v_mul_f64 v[2:3], v[40:41], v[44:45]
	v_mul_f64 v[4:5], v[40:41], v[42:43]
	v_fma_f64 v[78:79], v[38:39], v[42:43], v[2:3]
	v_mul_f64 v[2:3], v[16:17], v[112:113]
	buffer_load_dword v34, off, s[64:67], 0 offset:420 ; 4-byte Folded Reload
	buffer_load_dword v35, off, s[64:67], 0 offset:424 ; 4-byte Folded Reload
	;; [unrolled: 1-line block ×4, first 2 shown]
	buffer_load_dword v40, off, s[64:67], 0 ; 4-byte Folded Reload
	buffer_load_dword v41, off, s[64:67], 0 offset:4 ; 4-byte Folded Reload
	buffer_load_dword v42, off, s[64:67], 0 offset:8 ; 4-byte Folded Reload
	;; [unrolled: 1-line block ×3, first 2 shown]
	v_fma_f64 v[112:113], v[38:39], v[44:45], -v[4:5]
	s_waitcnt vmcnt(20)
	v_mul_f64 v[10:11], v[24:25], v[122:123]
	s_waitcnt vmcnt(12)
	v_mul_f64 v[12:13], v[28:29], v[50:51]
	v_add_f64 v[154:155], v[124:125], -v[78:79]
	v_fma_f64 v[156:157], v[14:15], v[114:115], -v[2:3]
	buffer_load_dword v14, off, s[64:67], 0 offset:292 ; 4-byte Folded Reload
	buffer_load_dword v15, off, s[64:67], 0 offset:296 ; 4-byte Folded Reload
	;; [unrolled: 1-line block ×12, first 2 shown]
	v_fma_f64 v[148:149], v[22:23], v[120:121], v[10:11]
	s_waitcnt vmcnt(20)
	v_mul_f64 v[8:9], v[20:21], v[110:111]
	v_fma_f64 v[76:77], v[26:27], v[48:49], v[12:13]
	v_mul_f64 v[12:13], v[24:25], v[120:121]
	v_add_f64 v[120:121], v[126:127], v[82:83]
	v_add_f64 v[186:187], v[156:157], -v[112:113]
	v_add_f64 v[184:185], v[124:125], v[78:79]
	v_fma_f64 v[158:159], v[18:19], v[108:109], v[8:9]
	v_mul_f64 v[8:9], v[20:21], v[108:109]
	v_add_f64 v[150:151], v[148:149], -v[76:77]
	v_fma_f64 v[160:161], v[22:23], v[122:123], -v[12:13]
	v_add_f64 v[122:123], v[156:157], v[112:113]
	v_add_f64 v[146:147], v[148:149], v[76:77]
	v_mul_f64 v[64:65], v[186:187], s[48:49]
	v_mul_f64 v[72:73], v[186:187], s[36:37]
	v_fma_f64 v[172:173], v[18:19], v[110:111], -v[8:9]
	v_mul_f64 v[8:9], v[28:29], v[48:49]
	v_fma_f64 v[209:210], v[184:185], s[20:21], -v[72:73]
	s_waitcnt vmcnt(12)
	v_mul_f64 v[10:11], v[36:37], v[42:43]
	s_waitcnt vmcnt(8)
	v_mul_f64 v[2:3], v[16:17], v[118:119]
	;; [unrolled: 2-line block ×3, first 2 shown]
	v_fma_f64 v[80:81], v[34:35], v[40:41], v[10:11]
	v_mul_f64 v[10:11], v[36:37], v[40:41]
	v_mul_f64 v[36:37], v[154:155], s[52:53]
	v_fma_f64 v[162:163], v[14:15], v[116:117], v[2:3]
	v_fma_f64 v[114:115], v[30:31], v[44:45], v[4:5]
	v_mul_f64 v[2:3], v[16:17], v[116:117]
	v_mul_f64 v[4:5], v[32:33], v[44:45]
	v_add_f64 v[207:208], v[158:159], -v[80:81]
	v_fma_f64 v[108:109], v[34:35], v[42:43], -v[10:11]
	v_fma_f64 v[116:117], v[26:27], v[50:51], -v[8:9]
	v_mul_f64 v[10:11], v[150:151], s[24:25]
	v_add_f64 v[176:177], v[158:159], v[80:81]
	v_add_f64 v[205:206], v[162:163], -v[114:115]
	v_fma_f64 v[144:145], v[14:15], v[118:119], -v[2:3]
	v_fma_f64 v[110:111], v[30:31], v[46:47], -v[4:5]
	v_mul_f64 v[2:3], v[207:208], s[18:19]
	v_add_f64 v[140:141], v[172:173], v[108:109]
	v_add_f64 v[138:139], v[160:161], v[116:117]
	v_mul_f64 v[14:15], v[154:155], s[44:45]
	v_add_f64 v[180:181], v[172:173], -v[108:109]
	v_mul_f64 v[4:5], v[205:206], s[36:37]
	v_add_f64 v[118:119], v[130:131], v[88:89]
	v_add_f64 v[136:137], v[144:145], v[110:111]
	v_add_f64 v[178:179], v[144:145], -v[110:111]
	v_fma_f64 v[8:9], v[140:141], s[12:13], v[2:3]
	v_fma_f64 v[16:17], v[138:139], s[14:15], v[10:11]
	;; [unrolled: 1-line block ×3, first 2 shown]
	v_mul_f64 v[22:23], v[180:181], s[18:19]
	v_add_f64 v[182:183], v[160:161], -v[116:117]
	v_add_f64 v[174:175], v[162:163], v[114:115]
	v_fma_f64 v[12:13], v[136:137], s[20:21], v[4:5]
	v_mul_f64 v[24:25], v[178:179], s[36:37]
	v_add_f64 v[8:9], v[106:107], v[8:9]
	v_fma_f64 v[2:3], v[140:141], s[12:13], -v[2:3]
	v_fma_f64 v[4:5], v[136:137], s[20:21], -v[4:5]
	;; [unrolled: 1-line block ×3, first 2 shown]
	v_fma_f64 v[22:23], v[176:177], s[12:13], v[22:23]
	v_mul_f64 v[30:31], v[186:187], s[44:45]
	v_fma_f64 v[10:11], v[138:139], s[14:15], -v[10:11]
	v_fma_f64 v[28:29], v[174:175], s[20:21], -v[24:25]
	v_add_f64 v[8:9], v[12:13], v[8:9]
	v_mul_f64 v[12:13], v[152:153], s[26:27]
	v_add_f64 v[2:3], v[106:107], v[2:3]
	v_add_f64 v[26:27], v[104:105], v[26:27]
	v_fma_f64 v[24:25], v[174:175], s[20:21], v[24:25]
	v_add_f64 v[22:23], v[104:105], v[22:23]
	v_fma_f64 v[34:35], v[184:185], s[22:23], -v[30:31]
	v_fma_f64 v[14:15], v[122:123], s[22:23], -v[14:15]
	v_add_f64 v[8:9], v[16:17], v[8:9]
	v_mul_f64 v[16:17], v[92:93], s[40:41]
	v_fma_f64 v[20:21], v[120:121], s[16:17], v[12:13]
	v_add_f64 v[26:27], v[28:29], v[26:27]
	v_add_f64 v[2:3], v[4:5], v[2:3]
	v_mul_f64 v[28:29], v[196:197], s[26:27]
	v_fma_f64 v[12:13], v[120:121], s[16:17], -v[12:13]
	v_mul_f64 v[46:47], v[182:183], s[38:39]
	v_add_f64 v[8:9], v[18:19], v[8:9]
	v_fma_f64 v[18:19], v[118:119], s[30:31], v[16:17]
	v_fma_f64 v[16:17], v[118:119], s[30:31], -v[16:17]
	v_mul_f64 v[50:51], v[186:187], s[52:53]
	v_add_f64 v[2:3], v[10:11], v[2:3]
	v_fma_f64 v[10:11], v[184:185], s[22:23], v[30:31]
	v_add_f64 v[172:173], v[106:107], v[172:173]
	v_fma_f64 v[52:53], v[146:147], s[0:1], -v[46:47]
	v_add_f64 v[8:9], v[20:21], v[8:9]
	v_fma_f64 v[20:21], v[142:143], s[28:29], v[0:1]
	v_fma_f64 v[0:1], v[142:143], s[28:29], -v[0:1]
	v_add_f64 v[158:159], v[104:105], v[158:159]
	v_add_f64 v[2:3], v[14:15], v[2:3]
	v_fma_f64 v[14:15], v[202:203], s[16:17], v[28:29]
	v_add_f64 v[144:145], v[172:173], v[144:145]
	v_add_f64 v[8:9], v[18:19], v[8:9]
	v_mul_f64 v[18:19], v[182:183], s[24:25]
	v_add_f64 v[158:159], v[158:159], v[162:163]
	v_add_f64 v[2:3], v[12:13], v[2:3]
	;; [unrolled: 1-line block ×4, first 2 shown]
	v_fma_f64 v[32:33], v[146:147], s[14:15], -v[18:19]
	v_fma_f64 v[4:5], v[146:147], s[14:15], v[18:19]
	v_add_f64 v[18:19], v[24:25], v[22:23]
	v_mul_f64 v[22:23], v[194:195], s[40:41]
	v_fma_f64 v[24:25], v[202:203], s[16:17], -v[28:29]
	v_add_f64 v[2:3], v[16:17], v[2:3]
	v_fma_f64 v[28:29], v[86:87], s[0:1], v[6:7]
	v_fma_f64 v[6:7], v[86:87], s[0:1], -v[6:7]
	v_add_f64 v[26:27], v[32:33], v[26:27]
	v_mul_f64 v[32:33], v[178:179], s[40:41]
	v_add_f64 v[4:5], v[4:5], v[18:19]
	v_mul_f64 v[18:19], v[190:191], s[6:7]
	v_fma_f64 v[30:31], v[200:201], s[30:31], -v[22:23]
	v_fma_f64 v[12:13], v[200:201], s[30:31], v[22:23]
	v_mul_f64 v[22:23], v[205:206], s[40:41]
	v_add_f64 v[42:43], v[28:29], v[8:9]
	v_add_f64 v[26:27], v[34:35], v[26:27]
	v_mul_f64 v[28:29], v[150:151], s[38:39]
	v_add_f64 v[4:5], v[10:11], v[4:5]
	v_fma_f64 v[16:17], v[198:199], s[28:29], v[18:19]
	v_mul_f64 v[10:11], v[188:189], s[46:47]
	v_fma_f64 v[48:49], v[174:175], s[30:31], -v[32:33]
	v_mul_f64 v[8:9], v[170:171], s[44:45]
	v_add_f64 v[0:1], v[0:1], v[2:3]
	v_add_f64 v[24:25], v[24:25], v[26:27]
	v_fma_f64 v[26:27], v[198:199], s[28:29], -v[18:19]
	v_add_f64 v[4:5], v[14:15], v[4:5]
	v_fma_f64 v[44:45], v[138:139], s[0:1], v[28:29]
	v_fma_f64 v[14:15], v[192:193], s[0:1], -v[10:11]
	v_fma_f64 v[28:29], v[138:139], s[0:1], -v[28:29]
	v_fma_f64 v[2:3], v[192:193], s[0:1], v[10:11]
	v_mul_f64 v[10:11], v[100:101], s[6:7]
	v_add_f64 v[24:25], v[30:31], v[24:25]
	v_fma_f64 v[30:31], v[136:137], s[30:31], v[22:23]
	v_add_f64 v[4:5], v[12:13], v[4:5]
	v_fma_f64 v[22:23], v[136:137], s[30:31], -v[22:23]
	v_mul_f64 v[12:13], v[92:93], s[18:19]
	v_add_f64 v[148:149], v[158:159], v[148:149]
	v_add_f64 v[144:145], v[144:145], v[156:157]
	v_add_f64 v[20:21], v[26:27], v[24:25]
	v_mul_f64 v[24:25], v[180:181], s[24:25]
	v_add_f64 v[4:5], v[16:17], v[4:5]
	v_mul_f64 v[16:17], v[207:208], s[24:25]
	v_fma_f64 v[18:19], v[118:119], s[12:13], v[12:13]
	v_fma_f64 v[12:13], v[118:119], s[12:13], -v[12:13]
	v_add_f64 v[124:125], v[148:149], v[124:125]
	v_add_f64 v[126:127], v[144:145], v[126:127]
	;; [unrolled: 1-line block ×3, first 2 shown]
	v_fma_f64 v[34:35], v[176:177], s[14:15], -v[24:25]
	v_fma_f64 v[24:25], v[176:177], s[14:15], v[24:25]
	v_fma_f64 v[26:27], v[140:141], s[14:15], v[16:17]
	v_fma_f64 v[16:17], v[140:141], s[14:15], -v[16:17]
	v_mul_f64 v[20:21], v[152:153], s[34:35]
	v_fma_f64 v[14:15], v[142:143], s[22:23], v[8:9]
	v_fma_f64 v[8:9], v[142:143], s[22:23], -v[8:9]
	v_add_f64 v[124:125], v[124:125], v[134:135]
	v_add_f64 v[34:35], v[104:105], v[34:35]
	;; [unrolled: 1-line block ×5, first 2 shown]
	v_fma_f64 v[38:39], v[120:121], s[20:21], v[20:21]
	v_fma_f64 v[20:21], v[120:121], s[20:21], -v[20:21]
	v_mul_f64 v[134:135], v[170:171], s[24:25]
	v_add_f64 v[34:35], v[48:49], v[34:35]
	v_fma_f64 v[48:49], v[184:185], s[16:17], -v[50:51]
	v_add_f64 v[26:27], v[30:31], v[26:27]
	v_fma_f64 v[30:31], v[122:123], s[16:17], v[36:37]
	v_add_f64 v[16:17], v[22:23], v[16:17]
	v_fma_f64 v[22:23], v[174:175], s[30:31], v[32:33]
	v_fma_f64 v[36:37], v[122:123], s[16:17], -v[36:37]
	v_add_f64 v[32:33], v[52:53], v[34:35]
	v_add_f64 v[26:27], v[44:45], v[26:27]
	v_mul_f64 v[44:45], v[196:197], s[34:35]
	v_add_f64 v[16:17], v[28:29], v[16:17]
	v_fma_f64 v[28:29], v[146:147], s[0:1], v[46:47]
	v_add_f64 v[22:23], v[22:23], v[24:25]
	v_add_f64 v[24:25], v[48:49], v[32:33]
	v_mul_f64 v[32:33], v[190:191], s[44:45]
	v_add_f64 v[26:27], v[30:31], v[26:27]
	v_mul_f64 v[30:31], v[194:195], s[18:19]
	v_fma_f64 v[34:35], v[202:203], s[20:21], -v[44:45]
	v_add_f64 v[16:17], v[36:37], v[16:17]
	v_fma_f64 v[36:37], v[184:185], s[16:17], v[50:51]
	v_add_f64 v[22:23], v[28:29], v[22:23]
	v_add_f64 v[48:49], v[2:3], v[4:5]
	v_fma_f64 v[28:29], v[198:199], s[22:23], -v[32:33]
	v_add_f64 v[26:27], v[38:39], v[26:27]
	v_fma_f64 v[38:39], v[200:201], s[12:13], -v[30:31]
	v_add_f64 v[24:25], v[34:35], v[24:25]
	v_add_f64 v[16:17], v[20:21], v[16:17]
	v_fma_f64 v[20:21], v[202:203], s[20:21], v[44:45]
	v_add_f64 v[22:23], v[36:37], v[22:23]
	v_fma_f64 v[34:35], v[86:87], s[28:29], v[10:11]
	v_add_f64 v[50:51], v[6:7], v[0:1]
	v_add_f64 v[18:19], v[18:19], v[26:27]
	v_mul_f64 v[26:27], v[188:189], s[6:7]
	v_add_f64 v[24:25], v[38:39], v[24:25]
	v_add_f64 v[12:13], v[12:13], v[16:17]
	v_fma_f64 v[16:17], v[200:201], s[12:13], v[30:31]
	v_add_f64 v[20:21], v[20:21], v[22:23]
	v_mul_f64 v[38:39], v[182:183], s[34:35]
	v_fma_f64 v[0:1], v[86:87], s[28:29], -v[10:11]
	v_add_f64 v[14:15], v[14:15], v[18:19]
	v_fma_f64 v[18:19], v[192:193], s[28:29], -v[26:27]
	v_add_f64 v[22:23], v[28:29], v[24:25]
	v_add_f64 v[2:3], v[8:9], v[12:13]
	v_mul_f64 v[12:13], v[207:208], s[26:27]
	v_mul_f64 v[28:29], v[178:179], s[50:51]
	v_add_f64 v[6:7], v[16:17], v[20:21]
	v_mul_f64 v[20:21], v[154:155], s[24:25]
	v_add_f64 v[46:47], v[34:35], v[14:15]
	v_mul_f64 v[34:35], v[150:151], s[34:35]
	v_add_f64 v[44:45], v[18:19], v[22:23]
	v_mul_f64 v[18:19], v[180:181], s[26:27]
	v_mul_f64 v[22:23], v[205:206], s[50:51]
	v_fma_f64 v[24:25], v[140:141], s[16:17], v[12:13]
	v_fma_f64 v[12:13], v[140:141], s[16:17], -v[12:13]
	v_fma_f64 v[52:53], v[174:175], s[28:29], -v[28:29]
	;; [unrolled: 1-line block ×3, first 2 shown]
	v_fma_f64 v[56:57], v[138:139], s[20:21], v[34:35]
	v_fma_f64 v[34:35], v[138:139], s[20:21], -v[34:35]
	v_fma_f64 v[30:31], v[176:177], s[16:17], -v[18:19]
	v_fma_f64 v[36:37], v[136:137], s[28:29], v[22:23]
	v_add_f64 v[24:25], v[106:107], v[24:25]
	v_fma_f64 v[22:23], v[136:137], s[28:29], -v[22:23]
	v_add_f64 v[12:13], v[106:107], v[12:13]
	v_fma_f64 v[18:19], v[176:177], s[16:17], v[18:19]
	v_fma_f64 v[4:5], v[198:199], s[22:23], v[32:33]
	v_mul_f64 v[14:15], v[152:153], s[46:47]
	v_add_f64 v[30:31], v[104:105], v[30:31]
	v_fma_f64 v[32:33], v[122:123], s[14:15], v[20:21]
	v_add_f64 v[24:25], v[36:37], v[24:25]
	v_mul_f64 v[36:37], v[186:187], s[24:25]
	v_add_f64 v[12:13], v[22:23], v[12:13]
	v_fma_f64 v[22:23], v[174:175], s[28:29], v[28:29]
	v_add_f64 v[18:19], v[104:105], v[18:19]
	v_mul_f64 v[28:29], v[196:197], s[46:47]
	v_add_f64 v[30:31], v[52:53], v[30:31]
	v_fma_f64 v[20:21], v[122:123], s[14:15], -v[20:21]
	v_add_f64 v[24:25], v[56:57], v[24:25]
	v_fma_f64 v[52:53], v[184:185], s[14:15], -v[36:37]
	v_add_f64 v[12:13], v[34:35], v[12:13]
	v_mul_f64 v[10:11], v[92:93], s[42:43]
	v_add_f64 v[54:55], v[0:1], v[2:3]
	v_fma_f64 v[0:1], v[192:193], s[28:29], v[26:27]
	v_add_f64 v[30:31], v[58:59], v[30:31]
	v_fma_f64 v[26:27], v[120:121], s[0:1], v[14:15]
	v_fma_f64 v[34:35], v[146:147], s[20:21], v[38:39]
	v_add_f64 v[18:19], v[22:23], v[18:19]
	v_add_f64 v[22:23], v[32:33], v[24:25]
	v_mul_f64 v[24:25], v[194:195], s[42:43]
	v_fma_f64 v[32:33], v[202:203], s[0:1], -v[28:29]
	v_fma_f64 v[14:15], v[120:121], s[0:1], -v[14:15]
	v_add_f64 v[30:31], v[52:53], v[30:31]
	v_add_f64 v[12:13], v[20:21], v[12:13]
	v_mul_f64 v[8:9], v[170:171], s[18:19]
	v_fma_f64 v[16:17], v[118:119], s[22:23], v[10:11]
	v_fma_f64 v[20:21], v[184:185], s[14:15], v[36:37]
	v_add_f64 v[18:19], v[34:35], v[18:19]
	v_add_f64 v[22:23], v[26:27], v[22:23]
	v_mul_f64 v[26:27], v[190:191], s[18:19]
	v_fma_f64 v[34:35], v[200:201], s[22:23], -v[24:25]
	v_add_f64 v[30:31], v[32:33], v[30:31]
	v_fma_f64 v[10:11], v[118:119], s[22:23], -v[10:11]
	v_add_f64 v[12:13], v[14:15], v[12:13]
	v_add_f64 v[2:3], v[4:5], v[6:7]
	v_mul_f64 v[4:5], v[100:101], s[40:41]
	v_fma_f64 v[6:7], v[142:143], s[12:13], v[8:9]
	v_fma_f64 v[14:15], v[202:203], s[0:1], v[28:29]
	v_add_f64 v[18:19], v[20:21], v[18:19]
	v_add_f64 v[16:17], v[16:17], v[22:23]
	v_mul_f64 v[20:21], v[188:189], s[40:41]
	v_fma_f64 v[22:23], v[198:199], s[12:13], -v[26:27]
	v_add_f64 v[28:29], v[34:35], v[30:31]
	v_fma_f64 v[8:9], v[142:143], s[12:13], -v[8:9]
	v_add_f64 v[10:11], v[10:11], v[12:13]
	v_fma_f64 v[12:13], v[200:201], s[22:23], v[24:25]
	v_add_f64 v[14:15], v[14:15], v[18:19]
	v_fma_f64 v[18:19], v[86:87], s[30:31], v[4:5]
	v_add_f64 v[6:7], v[6:7], v[16:17]
	v_fma_f64 v[16:17], v[192:193], s[30:31], -v[20:21]
	v_add_f64 v[22:23], v[22:23], v[28:29]
	v_fma_f64 v[4:5], v[86:87], s[30:31], -v[4:5]
	v_add_f64 v[8:9], v[8:9], v[10:11]
	v_fma_f64 v[10:11], v[198:199], s[12:13], v[26:27]
	v_mul_f64 v[24:25], v[178:179], s[54:55]
	v_mul_f64 v[28:29], v[150:151], s[44:45]
	v_add_f64 v[58:59], v[18:19], v[6:7]
	v_mul_f64 v[18:19], v[205:206], s[54:55]
	v_add_f64 v[56:57], v[16:17], v[22:23]
	;; [unrolled: 2-line block ×3, first 2 shown]
	v_mul_f64 v[8:9], v[207:208], s[6:7]
	v_fma_f64 v[4:5], v[192:193], s[30:31], v[20:21]
	v_mul_f64 v[36:37], v[182:183], s[44:45]
	v_fma_f64 v[38:39], v[174:175], s[14:15], -v[24:25]
	v_fma_f64 v[30:31], v[136:137], s[14:15], v[18:19]
	v_mul_f64 v[32:33], v[154:155], s[48:49]
	v_fma_f64 v[26:27], v[176:177], s[28:29], -v[16:17]
	v_fma_f64 v[60:61], v[138:139], s[22:23], v[28:29]
	v_fma_f64 v[20:21], v[140:141], s[28:29], v[8:9]
	v_fma_f64 v[8:9], v[140:141], s[28:29], -v[8:9]
	v_fma_f64 v[66:67], v[146:147], s[22:23], -v[36:37]
	v_fma_f64 v[16:17], v[176:177], s[28:29], v[16:17]
	v_fma_f64 v[18:19], v[136:137], s[14:15], -v[18:19]
	v_mul_f64 v[22:23], v[152:153], s[18:19]
	v_add_f64 v[26:27], v[104:105], v[26:27]
	v_fma_f64 v[24:25], v[174:175], s[14:15], v[24:25]
	v_add_f64 v[20:21], v[106:107], v[20:21]
	v_add_f64 v[8:9], v[106:107], v[8:9]
	v_fma_f64 v[28:29], v[138:139], s[22:23], -v[28:29]
	v_add_f64 v[16:17], v[104:105], v[16:17]
	v_fma_f64 v[36:37], v[146:147], s[22:23], v[36:37]
	v_fma_f64 v[34:35], v[120:121], s[12:13], v[22:23]
	v_add_f64 v[26:27], v[38:39], v[26:27]
	v_mul_f64 v[38:39], v[196:197], s[18:19]
	v_add_f64 v[20:21], v[30:31], v[20:21]
	v_fma_f64 v[30:31], v[122:123], s[30:31], v[32:33]
	v_add_f64 v[8:9], v[18:19], v[8:9]
	v_add_f64 v[16:17], v[24:25], v[16:17]
	;; [unrolled: 1-line block ×5, first 2 shown]
	v_mul_f64 v[2:3], v[92:93], s[46:47]
	v_add_f64 v[20:21], v[60:61], v[20:21]
	v_fma_f64 v[60:61], v[184:185], s[30:31], -v[64:65]
	v_add_f64 v[8:9], v[28:29], v[8:9]
	v_add_f64 v[16:17], v[36:37], v[16:17]
	v_fma_f64 v[22:23], v[120:121], s[12:13], -v[22:23]
	v_mul_f64 v[0:1], v[170:171], s[34:35]
	v_add_f64 v[6:7], v[10:11], v[12:13]
	v_fma_f64 v[14:15], v[118:119], s[0:1], v[2:3]
	v_add_f64 v[18:19], v[30:31], v[20:21]
	v_add_f64 v[24:25], v[60:61], v[26:27]
	v_fma_f64 v[26:27], v[122:123], s[30:31], -v[32:33]
	v_mul_f64 v[20:21], v[194:195], s[46:47]
	v_fma_f64 v[30:31], v[202:203], s[12:13], -v[38:39]
	v_mul_f64 v[28:29], v[190:191], s[34:35]
	v_fma_f64 v[2:3], v[118:119], s[0:1], -v[2:3]
	v_mul_f64 v[10:11], v[100:101], s[26:27]
	v_add_f64 v[18:19], v[34:35], v[18:19]
	v_fma_f64 v[34:35], v[184:185], s[30:31], v[64:65]
	v_add_f64 v[8:9], v[26:27], v[8:9]
	v_fma_f64 v[32:33], v[200:201], s[0:1], -v[20:21]
	v_add_f64 v[24:25], v[30:31], v[24:25]
	v_fma_f64 v[30:31], v[202:203], s[12:13], v[38:39]
	v_fma_f64 v[12:13], v[142:143], s[20:21], v[0:1]
	v_fma_f64 v[26:27], v[198:199], s[20:21], -v[28:29]
	v_add_f64 v[14:15], v[14:15], v[18:19]
	v_add_f64 v[16:17], v[34:35], v[16:17]
	;; [unrolled: 1-line block ×3, first 2 shown]
	v_mul_f64 v[18:19], v[188:189], s[26:27]
	v_add_f64 v[24:25], v[32:33], v[24:25]
	v_fma_f64 v[20:21], v[200:201], s[0:1], v[20:21]
	v_fma_f64 v[0:1], v[142:143], s[20:21], -v[0:1]
	v_add_f64 v[60:61], v[4:5], v[6:7]
	v_mul_f64 v[6:7], v[207:208], s[38:39]
	v_add_f64 v[16:17], v[30:31], v[16:17]
	v_add_f64 v[2:3], v[2:3], v[8:9]
	v_fma_f64 v[22:23], v[86:87], s[16:17], v[10:11]
	v_add_f64 v[12:13], v[12:13], v[14:15]
	v_fma_f64 v[14:15], v[192:193], s[16:17], -v[18:19]
	v_add_f64 v[24:25], v[26:27], v[24:25]
	v_mul_f64 v[32:33], v[154:155], s[36:37]
	v_mul_f64 v[36:37], v[182:183], s[50:51]
	v_add_f64 v[8:9], v[20:21], v[16:17]
	v_add_f64 v[0:1], v[0:1], v[2:3]
	v_mul_f64 v[2:3], v[205:206], s[18:19]
	v_fma_f64 v[16:17], v[140:141], s[0:1], v[6:7]
	v_add_f64 v[66:67], v[22:23], v[12:13]
	v_add_f64 v[64:65], v[14:15], v[24:25]
	v_mul_f64 v[14:15], v[180:181], s[38:39]
	v_mul_f64 v[20:21], v[150:151], s[50:51]
	;; [unrolled: 1-line block ×3, first 2 shown]
	v_fma_f64 v[6:7], v[140:141], s[0:1], -v[6:7]
	v_fma_f64 v[22:23], v[136:137], s[12:13], v[2:3]
	v_add_f64 v[16:17], v[106:107], v[16:17]
	v_fma_f64 v[70:71], v[122:123], s[20:21], v[32:33]
	v_fma_f64 v[4:5], v[198:199], s[20:21], v[28:29]
	v_fma_f64 v[26:27], v[176:177], s[0:1], -v[14:15]
	v_fma_f64 v[34:35], v[138:139], s[28:29], v[20:21]
	v_fma_f64 v[38:39], v[174:175], s[12:13], -v[24:25]
	v_fma_f64 v[14:15], v[176:177], s[0:1], v[14:15]
	v_mul_f64 v[28:29], v[92:93], s[24:25]
	v_add_f64 v[16:17], v[22:23], v[16:17]
	v_fma_f64 v[74:75], v[146:147], s[28:29], -v[36:37]
	v_fma_f64 v[2:3], v[136:137], s[12:13], -v[2:3]
	v_add_f64 v[26:27], v[104:105], v[26:27]
	v_add_f64 v[6:7], v[106:107], v[6:7]
	v_fma_f64 v[24:25], v[174:175], s[12:13], v[24:25]
	v_add_f64 v[14:15], v[104:105], v[14:15]
	v_add_f64 v[4:5], v[4:5], v[8:9]
	;; [unrolled: 1-line block ×3, first 2 shown]
	v_fma_f64 v[34:35], v[120:121], s[30:31], v[68:69]
	v_mul_f64 v[8:9], v[170:171], s[52:53]
	v_add_f64 v[26:27], v[38:39], v[26:27]
	v_fma_f64 v[22:23], v[118:119], s[14:15], v[28:29]
	v_mul_f64 v[38:39], v[196:197], s[48:49]
	v_fma_f64 v[20:21], v[138:139], s[28:29], -v[20:21]
	v_add_f64 v[2:3], v[2:3], v[6:7]
	v_add_f64 v[16:17], v[70:71], v[16:17]
	v_fma_f64 v[36:37], v[146:147], s[28:29], v[36:37]
	v_add_f64 v[14:15], v[24:25], v[14:15]
	v_add_f64 v[26:27], v[74:75], v[26:27]
	v_fma_f64 v[30:31], v[142:143], s[16:17], v[8:9]
	v_mul_f64 v[6:7], v[194:195], s[24:25]
	v_fma_f64 v[70:71], v[202:203], s[30:31], -v[38:39]
	v_fma_f64 v[32:33], v[122:123], s[20:21], -v[32:33]
	v_add_f64 v[16:17], v[34:35], v[16:17]
	v_add_f64 v[2:3], v[20:21], v[2:3]
	v_add_f64 v[14:15], v[36:37], v[14:15]
	v_add_f64 v[26:27], v[209:210], v[26:27]
	v_fma_f64 v[10:11], v[86:87], s[16:17], -v[10:11]
	v_fma_f64 v[12:13], v[192:193], s[16:17], v[18:19]
	v_mul_f64 v[18:19], v[100:101], s[44:45]
	v_mul_f64 v[20:21], v[190:191], s[52:53]
	v_add_f64 v[16:17], v[22:23], v[16:17]
	v_fma_f64 v[22:23], v[120:121], s[30:31], -v[68:69]
	v_fma_f64 v[68:69], v[184:185], s[20:21], v[72:73]
	v_fma_f64 v[34:35], v[200:201], s[14:15], -v[6:7]
	v_add_f64 v[24:25], v[70:71], v[26:27]
	v_add_f64 v[2:3], v[32:33], v[2:3]
	v_mul_f64 v[26:27], v[188:189], s[44:45]
	v_fma_f64 v[32:33], v[198:199], s[16:17], -v[20:21]
	v_add_f64 v[16:17], v[30:31], v[16:17]
	v_fma_f64 v[30:31], v[202:203], s[30:31], v[38:39]
	v_add_f64 v[14:15], v[68:69], v[14:15]
	v_fma_f64 v[28:29], v[118:119], s[14:15], -v[28:29]
	v_add_f64 v[24:25], v[34:35], v[24:25]
	v_fma_f64 v[34:35], v[86:87], s[22:23], v[18:19]
	v_add_f64 v[2:3], v[22:23], v[2:3]
	v_add_f64 v[74:75], v[10:11], v[0:1]
	v_fma_f64 v[0:1], v[142:143], s[16:17], -v[8:9]
	v_add_f64 v[72:73], v[12:13], v[4:5]
	v_fma_f64 v[4:5], v[200:201], s[14:15], v[6:7]
	v_add_f64 v[6:7], v[30:31], v[14:15]
	v_mul_f64 v[8:9], v[207:208], s[48:49]
	v_fma_f64 v[22:23], v[192:193], s[22:23], -v[26:27]
	v_add_f64 v[24:25], v[32:33], v[24:25]
	v_add_f64 v[2:3], v[28:29], v[2:3]
	;; [unrolled: 1-line block ×3, first 2 shown]
	v_mul_f64 v[12:13], v[180:181], s[48:49]
	s_mov_b32 s47, 0x3fc7851a
	v_add_f64 v[4:5], v[4:5], v[6:7]
	v_mul_f64 v[6:7], v[205:206], s[26:27]
	v_fma_f64 v[16:17], v[140:141], s[30:31], v[8:9]
	s_mov_b32 s46, s18
	v_add_f64 v[68:69], v[22:23], v[24:25]
	v_fma_f64 v[10:11], v[86:87], s[22:23], -v[18:19]
	v_add_f64 v[0:1], v[0:1], v[2:3]
	v_fma_f64 v[2:3], v[198:199], s[16:17], v[20:21]
	v_mul_f64 v[18:19], v[178:179], s[26:27]
	v_fma_f64 v[20:21], v[176:177], s[30:31], -v[12:13]
	v_mul_f64 v[22:23], v[150:151], s[46:47]
	v_fma_f64 v[8:9], v[140:141], s[30:31], -v[8:9]
	v_fma_f64 v[24:25], v[136:137], s[16:17], v[6:7]
	v_add_f64 v[16:17], v[106:107], v[16:17]
	v_fma_f64 v[14:15], v[192:193], s[22:23], v[26:27]
	v_mul_f64 v[26:27], v[182:183], s[46:47]
	v_fma_f64 v[28:29], v[174:175], s[16:17], -v[18:19]
	v_add_f64 v[20:21], v[104:105], v[20:21]
	v_mul_f64 v[30:31], v[154:155], s[50:51]
	v_fma_f64 v[6:7], v[136:137], s[16:17], -v[6:7]
	v_add_f64 v[8:9], v[106:107], v[8:9]
	v_fma_f64 v[32:33], v[138:139], s[12:13], v[22:23]
	v_add_f64 v[16:17], v[24:25], v[16:17]
	v_mul_f64 v[24:25], v[186:187], s[50:51]
	v_fma_f64 v[34:35], v[146:147], s[12:13], -v[26:27]
	v_add_f64 v[20:21], v[28:29], v[20:21]
	v_mul_f64 v[28:29], v[152:153], s[44:45]
	v_fma_f64 v[22:23], v[138:139], s[12:13], -v[22:23]
	v_add_f64 v[6:7], v[6:7], v[8:9]
	v_fma_f64 v[8:9], v[122:123], s[28:29], v[30:31]
	v_add_f64 v[16:17], v[32:33], v[16:17]
	;; [unrolled: 8-line block ×5, first 2 shown]
	v_mul_f64 v[30:31], v[188:189], s[24:25]
	v_fma_f64 v[211:212], v[198:199], s[0:1], -v[22:23]
	v_add_f64 v[20:21], v[209:210], v[20:21]
	v_fma_f64 v[36:37], v[142:143], s[0:1], -v[36:37]
	v_add_f64 v[4:5], v[2:3], v[4:5]
	v_add_f64 v[6:7], v[34:35], v[6:7]
	v_fma_f64 v[34:35], v[86:87], s[14:15], v[38:39]
	v_add_f64 v[8:9], v[28:29], v[8:9]
	v_add_f64 v[2:3], v[10:11], v[0:1]
	v_fma_f64 v[10:11], v[192:193], s[14:15], -v[30:31]
	v_add_f64 v[20:21], v[211:212], v[20:21]
	v_fma_f64 v[28:29], v[86:87], s[14:15], -v[38:39]
	v_mul_f64 v[38:39], v[207:208], s[42:43]
	v_add_f64 v[36:37], v[36:37], v[6:7]
	v_fma_f64 v[12:13], v[176:177], s[30:31], v[12:13]
	v_add_f64 v[6:7], v[34:35], v[8:9]
	v_mul_f64 v[8:9], v[180:181], s[42:43]
	v_add_f64 v[0:1], v[14:15], v[4:5]
	v_add_f64 v[4:5], v[10:11], v[20:21]
	v_mul_f64 v[14:15], v[205:206], s[38:39]
	v_fma_f64 v[20:21], v[140:141], s[22:23], v[38:39]
	v_add_f64 v[10:11], v[28:29], v[36:37]
	v_fma_f64 v[18:19], v[174:175], s[16:17], v[18:19]
	v_mul_f64 v[28:29], v[178:179], s[38:39]
	v_fma_f64 v[34:35], v[176:177], s[22:23], -v[8:9]
	v_add_f64 v[12:13], v[104:105], v[12:13]
	v_mul_f64 v[36:37], v[150:151], s[26:27]
	v_fma_f64 v[209:210], v[136:137], s[0:1], v[14:15]
	v_add_f64 v[20:21], v[106:107], v[20:21]
	v_fma_f64 v[26:27], v[146:147], s[12:13], v[26:27]
	v_mul_f64 v[211:212], v[182:183], s[26:27]
	v_fma_f64 v[213:214], v[174:175], s[0:1], -v[28:29]
	v_add_f64 v[34:35], v[104:105], v[34:35]
	v_add_f64 v[12:13], v[18:19], v[12:13]
	v_mul_f64 v[18:19], v[154:155], s[18:19]
	v_fma_f64 v[215:216], v[138:139], s[16:17], v[36:37]
	v_add_f64 v[20:21], v[209:210], v[20:21]
	v_fma_f64 v[24:25], v[184:185], s[28:29], v[24:25]
	v_mul_f64 v[209:210], v[186:187], s[18:19]
	v_fma_f64 v[217:218], v[146:147], s[16:17], -v[211:212]
	v_add_f64 v[34:35], v[213:214], v[34:35]
	v_add_f64 v[12:13], v[26:27], v[12:13]
	v_mul_f64 v[26:27], v[152:153], s[54:55]
	v_fma_f64 v[213:214], v[122:123], s[12:13], v[18:19]
	v_add_f64 v[20:21], v[215:216], v[20:21]
	v_fma_f64 v[32:33], v[202:203], s[22:23], v[32:33]
	v_mul_f64 v[215:216], v[196:197], s[54:55]
	v_fma_f64 v[219:220], v[184:185], s[12:13], -v[209:210]
	v_add_f64 v[34:35], v[217:218], v[34:35]
	v_add_f64 v[12:13], v[24:25], v[12:13]
	v_mul_f64 v[24:25], v[92:93], s[50:51]
	v_fma_f64 v[217:218], v[120:121], s[14:15], v[26:27]
	v_add_f64 v[20:21], v[213:214], v[20:21]
	v_fma_f64 v[16:17], v[200:201], s[20:21], v[16:17]
	v_mul_f64 v[213:214], v[194:195], s[50:51]
	v_fma_f64 v[221:222], v[202:203], s[14:15], -v[215:216]
	v_add_f64 v[34:35], v[219:220], v[34:35]
	v_add_f64 v[12:13], v[32:33], v[12:13]
	v_mul_f64 v[32:33], v[170:171], s[40:41]
	v_fma_f64 v[219:220], v[118:119], s[28:29], v[24:25]
	v_add_f64 v[20:21], v[217:218], v[20:21]
	v_fma_f64 v[22:23], v[198:199], s[0:1], v[22:23]
	v_fma_f64 v[225:226], v[200:201], s[28:29], -v[213:214]
	v_fma_f64 v[38:39], v[140:141], s[22:23], -v[38:39]
	v_add_f64 v[34:35], v[221:222], v[34:35]
	v_add_f64 v[12:13], v[16:17], v[12:13]
	v_fma_f64 v[221:222], v[142:143], s[30:31], v[32:33]
	v_fma_f64 v[8:9], v[176:177], s[22:23], v[8:9]
	v_add_f64 v[20:21], v[219:220], v[20:21]
	v_fma_f64 v[18:19], v[122:123], s[12:13], -v[18:19]
	v_mul_f64 v[16:17], v[100:101], s[36:37]
	v_mul_f64 v[217:218], v[190:191], s[40:41]
	v_add_f64 v[34:35], v[225:226], v[34:35]
	v_add_f64 v[225:226], v[22:23], v[12:13]
	v_fma_f64 v[12:13], v[136:137], s[0:1], -v[14:15]
	v_add_f64 v[14:15], v[106:107], v[38:39]
	v_add_f64 v[221:222], v[221:222], v[20:21]
	v_fma_f64 v[20:21], v[142:143], s[30:31], -v[32:33]
	v_fma_f64 v[22:23], v[138:139], s[16:17], -v[36:37]
	v_mul_f64 v[32:33], v[207:208], s[34:35]
	v_add_f64 v[8:9], v[104:105], v[8:9]
	v_fma_f64 v[229:230], v[86:87], s[20:21], v[16:17]
	v_fma_f64 v[16:17], v[86:87], s[20:21], -v[16:17]
	v_add_f64 v[12:13], v[12:13], v[14:15]
	v_fma_f64 v[14:15], v[118:119], s[28:29], -v[24:25]
	v_fma_f64 v[24:25], v[120:121], s[14:15], -v[26:27]
	v_fma_f64 v[26:27], v[174:175], s[0:1], v[28:29]
	v_mul_f64 v[28:29], v[205:206], s[42:43]
	v_fma_f64 v[36:37], v[140:141], s[20:21], v[32:33]
	v_fma_f64 v[32:33], v[140:141], s[20:21], -v[32:33]
	v_mul_f64 v[140:141], v[178:179], s[42:43]
	v_add_f64 v[12:13], v[22:23], v[12:13]
	v_fma_f64 v[22:23], v[146:147], s[16:17], v[211:212]
	v_mul_f64 v[219:220], v[188:189], s[36:37]
	v_add_f64 v[8:9], v[26:27], v[8:9]
	v_mul_f64 v[26:27], v[150:151], s[48:49]
	v_fma_f64 v[150:151], v[136:137], s[22:23], v[28:29]
	v_add_f64 v[36:37], v[106:107], v[36:37]
	v_fma_f64 v[28:29], v[136:137], s[22:23], -v[28:29]
	v_add_f64 v[12:13], v[18:19], v[12:13]
	v_fma_f64 v[18:19], v[184:185], s[12:13], v[209:210]
	v_add_f64 v[32:33], v[106:107], v[32:33]
	v_add_f64 v[8:9], v[22:23], v[8:9]
	v_mul_f64 v[22:23], v[154:155], s[38:39]
	v_fma_f64 v[154:155], v[138:139], s[30:31], v[26:27]
	v_add_f64 v[36:37], v[150:151], v[36:37]
	v_fma_f64 v[106:107], v[174:175], s[22:23], v[140:141]
	v_add_f64 v[12:13], v[24:25], v[12:13]
	v_fma_f64 v[24:25], v[202:203], s[14:15], v[215:216]
	v_fma_f64 v[26:27], v[138:139], s[30:31], -v[26:27]
	v_add_f64 v[8:9], v[18:19], v[8:9]
	v_mul_f64 v[18:19], v[152:153], s[6:7]
	v_fma_f64 v[150:151], v[122:123], s[0:1], v[22:23]
	v_add_f64 v[36:37], v[154:155], v[36:37]
	v_add_f64 v[28:29], v[28:29], v[32:33]
	;; [unrolled: 1-line block ×3, first 2 shown]
	v_fma_f64 v[14:15], v[200:201], s[28:29], v[213:214]
	v_fma_f64 v[22:23], v[122:123], s[0:1], -v[22:23]
	v_add_f64 v[8:9], v[24:25], v[8:9]
	v_mul_f64 v[24:25], v[92:93], s[26:27]
	v_fma_f64 v[92:93], v[120:121], s[28:29], v[18:19]
	v_add_f64 v[36:37], v[150:151], v[36:37]
	v_mul_f64 v[150:151], v[182:183], s[48:49]
	v_add_f64 v[12:13], v[20:21], v[12:13]
	v_add_f64 v[26:27], v[26:27], v[28:29]
	v_fma_f64 v[18:19], v[120:121], s[28:29], -v[18:19]
	v_add_f64 v[8:9], v[14:15], v[8:9]
	v_fma_f64 v[144:145], v[118:119], s[16:17], v[24:25]
	v_fma_f64 v[20:21], v[198:199], s[30:31], v[217:218]
	v_add_f64 v[36:37], v[92:93], v[36:37]
	v_add_f64 v[92:93], v[124:125], v[132:133]
	;; [unrolled: 1-line block ×4, first 2 shown]
	v_fma_f64 v[32:33], v[146:147], s[30:31], v[150:151]
	v_mul_f64 v[132:133], v[196:197], s[6:7]
	v_mul_f64 v[130:131], v[194:195], s[26:27]
	v_add_f64 v[22:23], v[22:23], v[26:27]
	v_add_f64 v[36:37], v[144:145], v[36:37]
	;; [unrolled: 1-line block ×3, first 2 shown]
	v_mul_f64 v[144:145], v[186:187], s[38:39]
	v_add_f64 v[16:17], v[16:17], v[128:129]
	v_mul_f64 v[128:129], v[180:181], s[34:35]
	v_fma_f64 v[26:27], v[202:203], s[28:29], v[132:133]
	v_mul_f64 v[126:127], v[190:191], s[24:25]
	v_fma_f64 v[24:25], v[118:119], s[16:17], -v[24:25]
	v_add_f64 v[18:19], v[18:19], v[22:23]
	v_add_f64 v[92:93], v[92:93], v[164:165]
	v_fma_f64 v[28:29], v[184:185], s[0:1], v[144:145]
	v_add_f64 v[16:17], v[16:17], v[166:167]
	v_fma_f64 v[148:149], v[176:177], s[20:21], v[128:129]
	v_fma_f64 v[128:129], v[176:177], s[20:21], -v[128:129]
	v_fma_f64 v[22:23], v[200:201], s[16:17], v[130:131]
	v_add_f64 v[8:9], v[20:21], v[8:9]
	v_mul_f64 v[20:21], v[100:101], s[18:19]
	v_add_f64 v[92:93], v[92:93], v[102:103]
	v_fma_f64 v[102:103], v[174:175], s[22:23], -v[140:141]
	v_add_f64 v[16:17], v[16:17], v[96:97]
	v_add_f64 v[96:97], v[104:105], v[148:149]
	v_add_f64 v[104:105], v[104:105], v[128:129]
	v_mul_f64 v[124:125], v[188:189], s[18:19]
	v_add_f64 v[18:19], v[24:25], v[18:19]
	v_fma_f64 v[24:25], v[198:199], s[14:15], v[126:127]
	v_fma_f64 v[227:228], v[198:199], s[30:31], -v[217:218]
	v_fma_f64 v[100:101], v[142:143], s[14:15], v[134:135]
	v_add_f64 v[16:17], v[16:17], v[84:85]
	v_add_f64 v[84:85], v[92:93], v[98:99]
	;; [unrolled: 1-line block ×3, first 2 shown]
	v_fma_f64 v[96:97], v[146:147], s[30:31], -v[150:151]
	v_add_f64 v[98:99], v[102:103], v[104:105]
	v_fma_f64 v[12:13], v[192:193], s[20:21], v[219:220]
	v_fma_f64 v[30:31], v[192:193], s[14:15], v[30:31]
	v_fma_f64 v[38:39], v[192:193], s[20:21], -v[219:220]
	v_add_f64 v[16:17], v[16:17], v[88:89]
	v_add_f64 v[84:85], v[84:85], v[94:95]
	;; [unrolled: 1-line block ×3, first 2 shown]
	v_fma_f64 v[88:89], v[184:185], s[0:1], -v[144:145]
	v_add_f64 v[92:93], v[96:97], v[98:99]
	v_add_f64 v[34:35], v[227:228], v[34:35]
	;; [unrolled: 1-line block ×7, first 2 shown]
	v_fma_f64 v[32:33], v[202:203], s[28:29], -v[132:133]
	v_add_f64 v[84:85], v[88:89], v[92:93]
	v_add_f64 v[8:9], v[30:31], v[225:226]
	;; [unrolled: 1-line block ×5, first 2 shown]
	v_fma_f64 v[28:29], v[200:201], s[16:17], -v[130:131]
	v_add_f64 v[32:33], v[32:33], v[84:85]
	v_fma_f64 v[82:83], v[142:143], s[14:15], -v[134:135]
	v_fma_f64 v[84:85], v[192:193], s[12:13], -v[124:125]
	v_add_f64 v[16:17], v[16:17], v[116:117]
	v_add_f64 v[76:77], v[78:79], v[76:77]
	;; [unrolled: 1-line block ×3, first 2 shown]
	v_fma_f64 v[26:27], v[198:199], s[14:15], -v[126:127]
	v_add_f64 v[28:29], v[28:29], v[32:33]
	v_fma_f64 v[32:33], v[86:87], s[12:13], -v[20:21]
	v_add_f64 v[18:19], v[82:83], v[18:19]
	v_fma_f64 v[78:79], v[192:193], s[12:13], v[124:125]
	v_add_f64 v[16:17], v[16:17], v[110:111]
	v_add_f64 v[76:77], v[76:77], v[114:115]
	;; [unrolled: 1-line block ×3, first 2 shown]
	v_fma_f64 v[82:83], v[86:87], s[12:13], v[20:21]
	v_add_f64 v[28:29], v[26:27], v[28:29]
	v_add_f64 v[26:27], v[229:230], v[221:222]
	;; [unrolled: 1-line block ×9, first 2 shown]
	ds_write_b128 v224, v[20:23]
	ds_write_b128 v224, v[16:19] offset:800
	ds_write_b128 v224, v[12:15] offset:1600
	;; [unrolled: 1-line block ×16, first 2 shown]
.LBB0_9:
	s_or_b64 exec, exec, s[2:3]
	s_waitcnt vmcnt(0) lgkmcnt(0)
	s_barrier
	ds_read_b128 v[0:3], v224
	buffer_load_dword v4, off, s[64:67], 0 offset:112 ; 4-byte Folded Reload
	buffer_load_dword v5, off, s[64:67], 0 offset:116 ; 4-byte Folded Reload
	s_mul_i32 s2, s9, 0x550
	s_mul_hi_u32 s3, s8, 0x550
	s_add_i32 s2, s3, s2
	s_mul_i32 s3, s8, 0x550
	s_waitcnt vmcnt(1)
	v_mov_b32_e32 v14, v4
	s_waitcnt vmcnt(0)
	ds_read_b128 v[4:7], v224 offset:1360
	buffer_load_dword v18, off, s[64:67], 0 offset:252 ; 4-byte Folded Reload
	buffer_load_dword v19, off, s[64:67], 0 offset:256 ; 4-byte Folded Reload
	;; [unrolled: 1-line block ×5, first 2 shown]
	v_mad_u64_u32 v[8:9], s[0:1], s10, v14, 0
	s_waitcnt vmcnt(1) lgkmcnt(1)
	v_mul_f64 v[10:11], v[20:21], v[2:3]
	v_mul_f64 v[12:13], v[20:21], v[0:1]
	v_fma_f64 v[0:1], v[18:19], v[0:1], v[10:11]
	v_fma_f64 v[2:3], v[18:19], v[2:3], -v[12:13]
	buffer_load_dword v19, off, s[64:67], 0 offset:204 ; 4-byte Folded Reload
	buffer_load_dword v20, off, s[64:67], 0 offset:208 ; 4-byte Folded Reload
	;; [unrolled: 1-line block ×4, first 2 shown]
	v_mad_u64_u32 v[14:15], s[0:1], s11, v14, v[9:10]
	s_waitcnt vmcnt(4)
	v_mad_u64_u32 v[15:16], s[0:1], s8, v17, 0
	v_mov_b32_e32 v9, v14
	v_lshlrev_b64 v[8:9], 4, v[8:9]
	v_mov_b32_e32 v10, v16
	v_mad_u64_u32 v[10:11], s[0:1], s9, v17, v[10:11]
	s_mov_b32 s0, 0xace01346
	s_mov_b32 s1, 0x3f534679
	v_mov_b32_e32 v16, v10
	v_mul_f64 v[0:1], v[0:1], s[0:1]
	v_mul_f64 v[2:3], v[2:3], s[0:1]
	v_mov_b32_e32 v14, s5
	v_add_co_u32_e32 v17, vcc, s4, v8
	v_addc_co_u32_e32 v18, vcc, v14, v9, vcc
	v_lshlrev_b64 v[8:9], 4, v[15:16]
	v_add_co_u32_e32 v14, vcc, v17, v8
	v_addc_co_u32_e32 v15, vcc, v18, v9, vcc
	global_store_dwordx4 v[14:15], v[0:3], off
	v_add_co_u32_e32 v14, vcc, s3, v14
	s_waitcnt vmcnt(1) lgkmcnt(0)
	v_mul_f64 v[10:11], v[21:22], v[6:7]
	v_mul_f64 v[12:13], v[21:22], v[4:5]
	v_fma_f64 v[10:11], v[19:20], v[4:5], v[10:11]
	v_fma_f64 v[12:13], v[19:20], v[6:7], -v[12:13]
	ds_read_b128 v[4:7], v224 offset:2720
	v_mov_b32_e32 v20, s2
	v_addc_co_u32_e32 v15, vcc, v15, v20, vcc
	v_mul_f64 v[0:1], v[10:11], s[0:1]
	ds_read_b128 v[8:11], v224 offset:4080
	buffer_load_dword v21, off, s[64:67], 0 offset:220 ; 4-byte Folded Reload
	buffer_load_dword v22, off, s[64:67], 0 offset:224 ; 4-byte Folded Reload
	;; [unrolled: 1-line block ×4, first 2 shown]
	v_mul_f64 v[2:3], v[12:13], s[0:1]
	s_waitcnt vmcnt(0) lgkmcnt(1)
	v_mul_f64 v[16:17], v[23:24], v[6:7]
	v_mul_f64 v[18:19], v[23:24], v[4:5]
	buffer_load_dword v23, off, s[64:67], 0 offset:156 ; 4-byte Folded Reload
	buffer_load_dword v24, off, s[64:67], 0 offset:160 ; 4-byte Folded Reload
	buffer_load_dword v25, off, s[64:67], 0 offset:164 ; 4-byte Folded Reload
	buffer_load_dword v26, off, s[64:67], 0 offset:168 ; 4-byte Folded Reload
	v_fma_f64 v[4:5], v[21:22], v[4:5], v[16:17]
	v_fma_f64 v[6:7], v[21:22], v[6:7], -v[18:19]
	global_store_dwordx4 v[14:15], v[0:3], off
	v_mov_b32_e32 v22, s2
	v_add_co_u32_e32 v14, vcc, s3, v14
	v_addc_co_u32_e32 v15, vcc, v15, v22, vcc
	v_mul_f64 v[0:1], v[4:5], s[0:1]
	v_mul_f64 v[2:3], v[6:7], s[0:1]
	ds_read_b128 v[4:7], v224 offset:5440
	s_waitcnt vmcnt(1) lgkmcnt(1)
	v_mul_f64 v[12:13], v[25:26], v[10:11]
	v_mul_f64 v[16:17], v[25:26], v[8:9]
	v_fma_f64 v[12:13], v[23:24], v[8:9], v[12:13]
	v_fma_f64 v[16:17], v[23:24], v[10:11], -v[16:17]
	ds_read_b128 v[8:11], v224 offset:6800
	buffer_load_dword v23, off, s[64:67], 0 offset:236 ; 4-byte Folded Reload
	buffer_load_dword v24, off, s[64:67], 0 offset:240 ; 4-byte Folded Reload
	;; [unrolled: 1-line block ×4, first 2 shown]
	s_waitcnt vmcnt(0) lgkmcnt(1)
	v_mul_f64 v[18:19], v[25:26], v[6:7]
	v_mul_f64 v[20:21], v[25:26], v[4:5]
	global_store_dwordx4 v[14:15], v[0:3], off
	v_add_co_u32_e32 v14, vcc, s3, v14
	v_mul_f64 v[0:1], v[12:13], s[0:1]
	v_mul_f64 v[2:3], v[16:17], s[0:1]
	v_addc_co_u32_e32 v15, vcc, v15, v22, vcc
	v_fma_f64 v[4:5], v[23:24], v[4:5], v[18:19]
	v_fma_f64 v[6:7], v[23:24], v[6:7], -v[20:21]
	buffer_load_dword v18, off, s[64:67], 0 offset:172 ; 4-byte Folded Reload
	buffer_load_dword v19, off, s[64:67], 0 offset:176 ; 4-byte Folded Reload
	;; [unrolled: 1-line block ×4, first 2 shown]
	s_waitcnt vmcnt(0) lgkmcnt(0)
	v_mul_f64 v[12:13], v[20:21], v[10:11]
	v_mul_f64 v[16:17], v[20:21], v[8:9]
	global_store_dwordx4 v[14:15], v[0:3], off
	v_add_co_u32_e32 v14, vcc, s3, v14
	v_mul_f64 v[0:1], v[4:5], s[0:1]
	v_mul_f64 v[2:3], v[6:7], s[0:1]
	ds_read_b128 v[4:7], v224 offset:8160
	v_fma_f64 v[12:13], v[18:19], v[8:9], v[12:13]
	v_fma_f64 v[16:17], v[18:19], v[10:11], -v[16:17]
	ds_read_b128 v[8:11], v224 offset:9520
	buffer_load_dword v23, off, s[64:67], 0 offset:140 ; 4-byte Folded Reload
	buffer_load_dword v24, off, s[64:67], 0 offset:144 ; 4-byte Folded Reload
	;; [unrolled: 1-line block ×4, first 2 shown]
	v_addc_co_u32_e32 v15, vcc, v15, v22, vcc
	global_store_dwordx4 v[14:15], v[0:3], off
	v_add_co_u32_e32 v14, vcc, s3, v14
	v_mul_f64 v[0:1], v[12:13], s[0:1]
	v_mul_f64 v[2:3], v[16:17], s[0:1]
	v_addc_co_u32_e32 v15, vcc, v15, v22, vcc
	s_waitcnt vmcnt(1) lgkmcnt(1)
	v_mul_f64 v[18:19], v[25:26], v[6:7]
	v_mul_f64 v[20:21], v[25:26], v[4:5]
	v_fma_f64 v[4:5], v[23:24], v[4:5], v[18:19]
	v_fma_f64 v[6:7], v[23:24], v[6:7], -v[20:21]
	buffer_load_dword v23, off, s[64:67], 0 offset:268 ; 4-byte Folded Reload
	buffer_load_dword v24, off, s[64:67], 0 offset:272 ; 4-byte Folded Reload
	;; [unrolled: 1-line block ×4, first 2 shown]
	v_mov_b32_e32 v18, s2
	global_store_dwordx4 v[14:15], v[0:3], off
	v_add_co_u32_e32 v14, vcc, s3, v14
	v_addc_co_u32_e32 v15, vcc, v15, v18, vcc
	v_mul_f64 v[0:1], v[4:5], s[0:1]
	v_mul_f64 v[2:3], v[6:7], s[0:1]
	s_waitcnt vmcnt(1) lgkmcnt(0)
	v_mul_f64 v[12:13], v[25:26], v[10:11]
	v_mul_f64 v[16:17], v[25:26], v[8:9]
	v_fma_f64 v[12:13], v[23:24], v[8:9], v[12:13]
	v_fma_f64 v[16:17], v[23:24], v[10:11], -v[16:17]
	ds_read_b128 v[4:7], v224 offset:10880
	ds_read_b128 v[8:11], v224 offset:12240
	buffer_load_dword v26, off, s[64:67], 0 offset:124 ; 4-byte Folded Reload
	buffer_load_dword v27, off, s[64:67], 0 offset:128 ; 4-byte Folded Reload
	;; [unrolled: 1-line block ×4, first 2 shown]
	s_waitcnt vmcnt(0) lgkmcnt(1)
	v_mul_f64 v[18:19], v[28:29], v[6:7]
	v_mul_f64 v[20:21], v[28:29], v[4:5]
	buffer_load_dword v28, off, s[64:67], 0 offset:188 ; 4-byte Folded Reload
	buffer_load_dword v29, off, s[64:67], 0 offset:192 ; 4-byte Folded Reload
	;; [unrolled: 1-line block ×4, first 2 shown]
	v_fma_f64 v[4:5], v[26:27], v[4:5], v[18:19]
	global_store_dwordx4 v[14:15], v[0:3], off
	v_fma_f64 v[6:7], v[26:27], v[6:7], -v[20:21]
	v_mul_f64 v[0:1], v[12:13], s[0:1]
	v_mul_f64 v[2:3], v[16:17], s[0:1]
	v_mov_b32_e32 v13, s2
	v_add_co_u32_e32 v12, vcc, s3, v14
	v_addc_co_u32_e32 v13, vcc, v15, v13, vcc
	v_mov_b32_e32 v14, s2
	global_store_dwordx4 v[12:13], v[0:3], off
	s_nop 0
	v_mul_f64 v[0:1], v[4:5], s[0:1]
	v_mul_f64 v[2:3], v[6:7], s[0:1]
	s_waitcnt vmcnt(2) lgkmcnt(0)
	v_mul_f64 v[22:23], v[30:31], v[10:11]
	v_mul_f64 v[24:25], v[30:31], v[8:9]
	v_fma_f64 v[8:9], v[28:29], v[8:9], v[22:23]
	v_fma_f64 v[10:11], v[28:29], v[10:11], -v[24:25]
	v_mul_f64 v[4:5], v[8:9], s[0:1]
	v_mul_f64 v[6:7], v[10:11], s[0:1]
	v_add_co_u32_e32 v8, vcc, s3, v12
	v_addc_co_u32_e32 v9, vcc, v13, v14, vcc
	global_store_dwordx4 v[8:9], v[0:3], off
	s_nop 0
	v_mov_b32_e32 v1, s2
	v_add_co_u32_e32 v0, vcc, s3, v8
	v_addc_co_u32_e32 v1, vcc, v9, v1, vcc
	global_store_dwordx4 v[0:1], v[4:7], off
.LBB0_10:
	s_endpgm
	.section	.rodata,"a",@progbits
	.p2align	6, 0x0
	.amdhsa_kernel bluestein_single_fwd_len850_dim1_dp_op_CI_CI
		.amdhsa_group_segment_fixed_size 13600
		.amdhsa_private_segment_fixed_size 1184
		.amdhsa_kernarg_size 104
		.amdhsa_user_sgpr_count 6
		.amdhsa_user_sgpr_private_segment_buffer 1
		.amdhsa_user_sgpr_dispatch_ptr 0
		.amdhsa_user_sgpr_queue_ptr 0
		.amdhsa_user_sgpr_kernarg_segment_ptr 1
		.amdhsa_user_sgpr_dispatch_id 0
		.amdhsa_user_sgpr_flat_scratch_init 0
		.amdhsa_user_sgpr_private_segment_size 0
		.amdhsa_uses_dynamic_stack 0
		.amdhsa_system_sgpr_private_segment_wavefront_offset 1
		.amdhsa_system_sgpr_workgroup_id_x 1
		.amdhsa_system_sgpr_workgroup_id_y 0
		.amdhsa_system_sgpr_workgroup_id_z 0
		.amdhsa_system_sgpr_workgroup_info 0
		.amdhsa_system_vgpr_workitem_id 0
		.amdhsa_next_free_vgpr 256
		.amdhsa_next_free_sgpr 68
		.amdhsa_reserve_vcc 1
		.amdhsa_reserve_flat_scratch 0
		.amdhsa_float_round_mode_32 0
		.amdhsa_float_round_mode_16_64 0
		.amdhsa_float_denorm_mode_32 3
		.amdhsa_float_denorm_mode_16_64 3
		.amdhsa_dx10_clamp 1
		.amdhsa_ieee_mode 1
		.amdhsa_fp16_overflow 0
		.amdhsa_exception_fp_ieee_invalid_op 0
		.amdhsa_exception_fp_denorm_src 0
		.amdhsa_exception_fp_ieee_div_zero 0
		.amdhsa_exception_fp_ieee_overflow 0
		.amdhsa_exception_fp_ieee_underflow 0
		.amdhsa_exception_fp_ieee_inexact 0
		.amdhsa_exception_int_div_zero 0
	.end_amdhsa_kernel
	.text
.Lfunc_end0:
	.size	bluestein_single_fwd_len850_dim1_dp_op_CI_CI, .Lfunc_end0-bluestein_single_fwd_len850_dim1_dp_op_CI_CI
                                        ; -- End function
	.section	.AMDGPU.csdata,"",@progbits
; Kernel info:
; codeLenInByte = 29236
; NumSgprs: 72
; NumVgprs: 256
; ScratchSize: 1184
; MemoryBound: 0
; FloatMode: 240
; IeeeMode: 1
; LDSByteSize: 13600 bytes/workgroup (compile time only)
; SGPRBlocks: 8
; VGPRBlocks: 63
; NumSGPRsForWavesPerEU: 72
; NumVGPRsForWavesPerEU: 256
; Occupancy: 1
; WaveLimiterHint : 1
; COMPUTE_PGM_RSRC2:SCRATCH_EN: 1
; COMPUTE_PGM_RSRC2:USER_SGPR: 6
; COMPUTE_PGM_RSRC2:TRAP_HANDLER: 0
; COMPUTE_PGM_RSRC2:TGID_X_EN: 1
; COMPUTE_PGM_RSRC2:TGID_Y_EN: 0
; COMPUTE_PGM_RSRC2:TGID_Z_EN: 0
; COMPUTE_PGM_RSRC2:TIDIG_COMP_CNT: 0
	.type	__hip_cuid_d0ad5403105453c,@object ; @__hip_cuid_d0ad5403105453c
	.section	.bss,"aw",@nobits
	.globl	__hip_cuid_d0ad5403105453c
__hip_cuid_d0ad5403105453c:
	.byte	0                               ; 0x0
	.size	__hip_cuid_d0ad5403105453c, 1

	.ident	"AMD clang version 19.0.0git (https://github.com/RadeonOpenCompute/llvm-project roc-6.4.0 25133 c7fe45cf4b819c5991fe208aaa96edf142730f1d)"
	.section	".note.GNU-stack","",@progbits
	.addrsig
	.addrsig_sym __hip_cuid_d0ad5403105453c
	.amdgpu_metadata
---
amdhsa.kernels:
  - .args:
      - .actual_access:  read_only
        .address_space:  global
        .offset:         0
        .size:           8
        .value_kind:     global_buffer
      - .actual_access:  read_only
        .address_space:  global
        .offset:         8
        .size:           8
        .value_kind:     global_buffer
      - .actual_access:  read_only
        .address_space:  global
        .offset:         16
        .size:           8
        .value_kind:     global_buffer
      - .actual_access:  read_only
        .address_space:  global
        .offset:         24
        .size:           8
        .value_kind:     global_buffer
      - .actual_access:  read_only
        .address_space:  global
        .offset:         32
        .size:           8
        .value_kind:     global_buffer
      - .offset:         40
        .size:           8
        .value_kind:     by_value
      - .address_space:  global
        .offset:         48
        .size:           8
        .value_kind:     global_buffer
      - .address_space:  global
        .offset:         56
        .size:           8
        .value_kind:     global_buffer
      - .address_space:  global
        .offset:         64
        .size:           8
        .value_kind:     global_buffer
      - .address_space:  global
        .offset:         72
        .size:           8
        .value_kind:     global_buffer
      - .offset:         80
        .size:           4
        .value_kind:     by_value
      - .address_space:  global
        .offset:         88
        .size:           8
        .value_kind:     global_buffer
      - .address_space:  global
        .offset:         96
        .size:           8
        .value_kind:     global_buffer
    .group_segment_fixed_size: 13600
    .kernarg_segment_align: 8
    .kernarg_segment_size: 104
    .language:       OpenCL C
    .language_version:
      - 2
      - 0
    .max_flat_workgroup_size: 85
    .name:           bluestein_single_fwd_len850_dim1_dp_op_CI_CI
    .private_segment_fixed_size: 1184
    .sgpr_count:     72
    .sgpr_spill_count: 0
    .symbol:         bluestein_single_fwd_len850_dim1_dp_op_CI_CI.kd
    .uniform_work_group_size: 1
    .uses_dynamic_stack: false
    .vgpr_count:     256
    .vgpr_spill_count: 323
    .wavefront_size: 64
amdhsa.target:   amdgcn-amd-amdhsa--gfx906
amdhsa.version:
  - 1
  - 2
...

	.end_amdgpu_metadata
